;; amdgpu-corpus repo=ROCm/rocFFT kind=compiled arch=gfx1100 opt=O3
	.text
	.amdgcn_target "amdgcn-amd-amdhsa--gfx1100"
	.amdhsa_code_object_version 6
	.protected	fft_rtc_fwd_len1960_factors_4_7_2_7_5_wgs_56_tpt_56_halfLds_dp_op_CI_CI_unitstride_sbrr_C2R_dirReg ; -- Begin function fft_rtc_fwd_len1960_factors_4_7_2_7_5_wgs_56_tpt_56_halfLds_dp_op_CI_CI_unitstride_sbrr_C2R_dirReg
	.globl	fft_rtc_fwd_len1960_factors_4_7_2_7_5_wgs_56_tpt_56_halfLds_dp_op_CI_CI_unitstride_sbrr_C2R_dirReg
	.p2align	8
	.type	fft_rtc_fwd_len1960_factors_4_7_2_7_5_wgs_56_tpt_56_halfLds_dp_op_CI_CI_unitstride_sbrr_C2R_dirReg,@function
fft_rtc_fwd_len1960_factors_4_7_2_7_5_wgs_56_tpt_56_halfLds_dp_op_CI_CI_unitstride_sbrr_C2R_dirReg: ; @fft_rtc_fwd_len1960_factors_4_7_2_7_5_wgs_56_tpt_56_halfLds_dp_op_CI_CI_unitstride_sbrr_C2R_dirReg
; %bb.0:
	s_clause 0x2
	s_load_b128 s[8:11], s[0:1], 0x0
	s_load_b128 s[4:7], s[0:1], 0x58
	;; [unrolled: 1-line block ×3, first 2 shown]
	v_mul_u32_u24_e32 v1, 0x493, v0
	v_mov_b32_e32 v3, 0
	s_delay_alu instid0(VALU_DEP_2) | instskip(NEXT) | instid1(VALU_DEP_1)
	v_lshrrev_b32_e32 v1, 16, v1
	v_add_nc_u32_e32 v5, s15, v1
	v_mov_b32_e32 v1, 0
	v_mov_b32_e32 v2, 0
	;; [unrolled: 1-line block ×3, first 2 shown]
	s_waitcnt lgkmcnt(0)
	v_cmp_lt_u64_e64 s2, s[10:11], 2
	s_delay_alu instid0(VALU_DEP_1)
	s_and_b32 vcc_lo, exec_lo, s2
	s_cbranch_vccnz .LBB0_8
; %bb.1:
	s_load_b64 s[2:3], s[0:1], 0x10
	s_add_u32 s12, s18, 8
	v_mov_b32_e32 v1, 0
	s_addc_u32 s13, s19, 0
	v_mov_b32_e32 v2, 0
	s_add_u32 s14, s16, 8
	s_addc_u32 s15, s17, 0
	s_mov_b64 s[22:23], 1
	scratch_store_b64 off, v[1:2], off offset:8 ; 8-byte Folded Spill
	s_waitcnt lgkmcnt(0)
	s_add_u32 s20, s2, 8
	s_addc_u32 s21, s3, 0
.LBB0_2:                                ; =>This Inner Loop Header: Depth=1
	s_load_b64 s[24:25], s[20:21], 0x0
                                        ; implicit-def: $vgpr7_vgpr8
                                        ; kill: killed $vgpr7_vgpr8
	s_mov_b32 s2, exec_lo
	s_waitcnt lgkmcnt(0)
	v_or_b32_e32 v4, s25, v6
	s_delay_alu instid0(VALU_DEP_1)
	v_cmpx_ne_u64_e32 0, v[3:4]
	s_xor_b32 s3, exec_lo, s2
	s_cbranch_execz .LBB0_4
; %bb.3:                                ;   in Loop: Header=BB0_2 Depth=1
	v_cvt_f32_u32_e32 v4, s24
	v_cvt_f32_u32_e32 v7, s25
	s_sub_u32 s2, 0, s24
	s_subb_u32 s26, 0, s25
	s_delay_alu instid0(VALU_DEP_1) | instskip(NEXT) | instid1(VALU_DEP_1)
	v_fmac_f32_e32 v4, 0x4f800000, v7
	v_rcp_f32_e32 v4, v4
	s_waitcnt_depctr 0xfff
	v_mul_f32_e32 v4, 0x5f7ffffc, v4
	s_delay_alu instid0(VALU_DEP_1) | instskip(NEXT) | instid1(VALU_DEP_1)
	v_mul_f32_e32 v7, 0x2f800000, v4
	v_trunc_f32_e32 v7, v7
	s_delay_alu instid0(VALU_DEP_1) | instskip(SKIP_1) | instid1(VALU_DEP_2)
	v_fmac_f32_e32 v4, 0xcf800000, v7
	v_cvt_u32_f32_e32 v7, v7
	v_cvt_u32_f32_e32 v4, v4
	s_delay_alu instid0(VALU_DEP_2) | instskip(NEXT) | instid1(VALU_DEP_2)
	v_mul_lo_u32 v8, s2, v7
	v_mul_hi_u32 v9, s2, v4
	v_mul_lo_u32 v10, s26, v4
	s_delay_alu instid0(VALU_DEP_2) | instskip(SKIP_1) | instid1(VALU_DEP_2)
	v_add_nc_u32_e32 v8, v9, v8
	v_mul_lo_u32 v9, s2, v4
	v_add_nc_u32_e32 v8, v8, v10
	s_delay_alu instid0(VALU_DEP_2) | instskip(NEXT) | instid1(VALU_DEP_2)
	v_mul_hi_u32 v10, v4, v9
	v_mul_lo_u32 v11, v4, v8
	v_mul_hi_u32 v12, v4, v8
	v_mul_hi_u32 v13, v7, v9
	v_mul_lo_u32 v9, v7, v9
	v_mul_hi_u32 v14, v7, v8
	v_mul_lo_u32 v8, v7, v8
	v_add_co_u32 v10, vcc_lo, v10, v11
	v_add_co_ci_u32_e32 v11, vcc_lo, 0, v12, vcc_lo
	s_delay_alu instid0(VALU_DEP_2) | instskip(NEXT) | instid1(VALU_DEP_2)
	v_add_co_u32 v9, vcc_lo, v10, v9
	v_add_co_ci_u32_e32 v9, vcc_lo, v11, v13, vcc_lo
	v_add_co_ci_u32_e32 v10, vcc_lo, 0, v14, vcc_lo
	s_delay_alu instid0(VALU_DEP_2) | instskip(NEXT) | instid1(VALU_DEP_2)
	v_add_co_u32 v8, vcc_lo, v9, v8
	v_add_co_ci_u32_e32 v9, vcc_lo, 0, v10, vcc_lo
	s_delay_alu instid0(VALU_DEP_2) | instskip(NEXT) | instid1(VALU_DEP_2)
	v_add_co_u32 v4, vcc_lo, v4, v8
	v_add_co_ci_u32_e32 v7, vcc_lo, v7, v9, vcc_lo
	s_delay_alu instid0(VALU_DEP_2) | instskip(SKIP_1) | instid1(VALU_DEP_3)
	v_mul_hi_u32 v8, s2, v4
	v_mul_lo_u32 v10, s26, v4
	v_mul_lo_u32 v9, s2, v7
	s_delay_alu instid0(VALU_DEP_1) | instskip(SKIP_1) | instid1(VALU_DEP_2)
	v_add_nc_u32_e32 v8, v8, v9
	v_mul_lo_u32 v9, s2, v4
	v_add_nc_u32_e32 v8, v8, v10
	s_delay_alu instid0(VALU_DEP_2) | instskip(NEXT) | instid1(VALU_DEP_2)
	v_mul_hi_u32 v10, v4, v9
	v_mul_lo_u32 v11, v4, v8
	v_mul_hi_u32 v12, v4, v8
	v_mul_hi_u32 v13, v7, v9
	v_mul_lo_u32 v9, v7, v9
	v_mul_hi_u32 v14, v7, v8
	v_mul_lo_u32 v8, v7, v8
	v_add_co_u32 v10, vcc_lo, v10, v11
	v_add_co_ci_u32_e32 v11, vcc_lo, 0, v12, vcc_lo
	s_delay_alu instid0(VALU_DEP_2) | instskip(NEXT) | instid1(VALU_DEP_2)
	v_add_co_u32 v9, vcc_lo, v10, v9
	v_add_co_ci_u32_e32 v9, vcc_lo, v11, v13, vcc_lo
	v_add_co_ci_u32_e32 v10, vcc_lo, 0, v14, vcc_lo
	s_delay_alu instid0(VALU_DEP_2) | instskip(NEXT) | instid1(VALU_DEP_2)
	v_add_co_u32 v8, vcc_lo, v9, v8
	v_add_co_ci_u32_e32 v9, vcc_lo, 0, v10, vcc_lo
	s_delay_alu instid0(VALU_DEP_2) | instskip(NEXT) | instid1(VALU_DEP_2)
	v_add_co_u32 v4, vcc_lo, v4, v8
	v_add_co_ci_u32_e32 v13, vcc_lo, v7, v9, vcc_lo
	s_delay_alu instid0(VALU_DEP_2) | instskip(SKIP_1) | instid1(VALU_DEP_3)
	v_mul_hi_u32 v14, v5, v4
	v_mad_u64_u32 v[9:10], null, v6, v4, 0
	v_mad_u64_u32 v[7:8], null, v5, v13, 0
	;; [unrolled: 1-line block ×3, first 2 shown]
	s_delay_alu instid0(VALU_DEP_2) | instskip(NEXT) | instid1(VALU_DEP_3)
	v_add_co_u32 v4, vcc_lo, v14, v7
	v_add_co_ci_u32_e32 v7, vcc_lo, 0, v8, vcc_lo
	s_delay_alu instid0(VALU_DEP_2) | instskip(NEXT) | instid1(VALU_DEP_2)
	v_add_co_u32 v4, vcc_lo, v4, v9
	v_add_co_ci_u32_e32 v4, vcc_lo, v7, v10, vcc_lo
	v_add_co_ci_u32_e32 v7, vcc_lo, 0, v12, vcc_lo
	s_delay_alu instid0(VALU_DEP_2) | instskip(NEXT) | instid1(VALU_DEP_2)
	v_add_co_u32 v4, vcc_lo, v4, v11
	v_add_co_ci_u32_e32 v9, vcc_lo, 0, v7, vcc_lo
	s_delay_alu instid0(VALU_DEP_2) | instskip(SKIP_1) | instid1(VALU_DEP_3)
	v_mul_lo_u32 v10, s25, v4
	v_mad_u64_u32 v[7:8], null, s24, v4, 0
	v_mul_lo_u32 v11, s24, v9
	s_delay_alu instid0(VALU_DEP_2) | instskip(NEXT) | instid1(VALU_DEP_2)
	v_sub_co_u32 v7, vcc_lo, v5, v7
	v_add3_u32 v8, v8, v11, v10
	s_delay_alu instid0(VALU_DEP_1) | instskip(NEXT) | instid1(VALU_DEP_1)
	v_sub_nc_u32_e32 v10, v6, v8
	v_subrev_co_ci_u32_e64 v10, s2, s25, v10, vcc_lo
	v_add_co_u32 v11, s2, v4, 2
	s_delay_alu instid0(VALU_DEP_1) | instskip(SKIP_3) | instid1(VALU_DEP_3)
	v_add_co_ci_u32_e64 v12, s2, 0, v9, s2
	v_sub_co_u32 v13, s2, v7, s24
	v_sub_co_ci_u32_e32 v8, vcc_lo, v6, v8, vcc_lo
	v_subrev_co_ci_u32_e64 v10, s2, 0, v10, s2
	v_cmp_le_u32_e32 vcc_lo, s24, v13
	s_delay_alu instid0(VALU_DEP_3) | instskip(SKIP_1) | instid1(VALU_DEP_4)
	v_cmp_eq_u32_e64 s2, s25, v8
	v_cndmask_b32_e64 v13, 0, -1, vcc_lo
	v_cmp_le_u32_e32 vcc_lo, s25, v10
	v_cndmask_b32_e64 v14, 0, -1, vcc_lo
	v_cmp_le_u32_e32 vcc_lo, s24, v7
	;; [unrolled: 2-line block ×3, first 2 shown]
	v_cndmask_b32_e64 v15, 0, -1, vcc_lo
	v_cmp_eq_u32_e32 vcc_lo, s25, v10
	s_delay_alu instid0(VALU_DEP_2) | instskip(SKIP_3) | instid1(VALU_DEP_3)
	v_cndmask_b32_e64 v7, v15, v7, s2
	v_cndmask_b32_e32 v10, v14, v13, vcc_lo
	v_add_co_u32 v13, vcc_lo, v4, 1
	v_add_co_ci_u32_e32 v14, vcc_lo, 0, v9, vcc_lo
	v_cmp_ne_u32_e32 vcc_lo, 0, v10
	s_delay_alu instid0(VALU_DEP_2) | instskip(NEXT) | instid1(VALU_DEP_4)
	v_cndmask_b32_e32 v8, v14, v12, vcc_lo
	v_cndmask_b32_e32 v10, v13, v11, vcc_lo
	v_cmp_ne_u32_e32 vcc_lo, 0, v7
	s_delay_alu instid0(VALU_DEP_2)
	v_dual_cndmask_b32 v7, v4, v10 :: v_dual_cndmask_b32 v8, v9, v8
	scratch_store_b64 off, v[7:8], off      ; 8-byte Folded Spill
.LBB0_4:                                ;   in Loop: Header=BB0_2 Depth=1
	s_and_not1_saveexec_b32 s2, s3
	s_cbranch_execz .LBB0_6
; %bb.5:                                ;   in Loop: Header=BB0_2 Depth=1
	v_cvt_f32_u32_e32 v4, s24
	s_sub_i32 s3, 0, s24
	s_delay_alu instid0(VALU_DEP_1) | instskip(SKIP_2) | instid1(VALU_DEP_1)
	v_rcp_iflag_f32_e32 v4, v4
	s_waitcnt_depctr 0xfff
	v_mul_f32_e32 v4, 0x4f7ffffe, v4
	v_cvt_u32_f32_e32 v4, v4
	s_delay_alu instid0(VALU_DEP_1) | instskip(NEXT) | instid1(VALU_DEP_1)
	v_mul_lo_u32 v7, s3, v4
	v_mul_hi_u32 v7, v4, v7
	s_delay_alu instid0(VALU_DEP_1) | instskip(NEXT) | instid1(VALU_DEP_1)
	v_add_nc_u32_e32 v4, v4, v7
	v_mul_hi_u32 v4, v5, v4
	s_delay_alu instid0(VALU_DEP_1) | instskip(SKIP_1) | instid1(VALU_DEP_2)
	v_mul_lo_u32 v7, v4, s24
	v_add_nc_u32_e32 v8, 1, v4
	v_sub_nc_u32_e32 v7, v5, v7
	s_delay_alu instid0(VALU_DEP_1) | instskip(SKIP_1) | instid1(VALU_DEP_2)
	v_subrev_nc_u32_e32 v9, s24, v7
	v_cmp_le_u32_e32 vcc_lo, s24, v7
	v_dual_cndmask_b32 v7, v7, v9 :: v_dual_cndmask_b32 v4, v4, v8
	s_delay_alu instid0(VALU_DEP_1) | instskip(NEXT) | instid1(VALU_DEP_2)
	v_cmp_le_u32_e32 vcc_lo, s24, v7
	v_add_nc_u32_e32 v8, 1, v4
	s_delay_alu instid0(VALU_DEP_1)
	v_dual_cndmask_b32 v7, v4, v8 :: v_dual_mov_b32 v8, v3
	scratch_store_b64 off, v[7:8], off      ; 8-byte Folded Spill
.LBB0_6:                                ;   in Loop: Header=BB0_2 Depth=1
	s_or_b32 exec_lo, exec_lo, s2
	scratch_load_b64 v[13:14], off, off     ; 8-byte Folded Reload
	s_load_b64 s[2:3], s[14:15], 0x0
	s_add_u32 s22, s22, 1
	s_addc_u32 s23, s23, 0
	s_waitcnt vmcnt(0)
	v_mul_lo_u32 v4, v14, s24
	v_mul_lo_u32 v9, v13, s25
	v_mad_u64_u32 v[7:8], null, v13, s24, 0
	s_load_b64 s[24:25], s[12:13], 0x0
	s_add_u32 s12, s12, 8
	s_addc_u32 s13, s13, 0
	s_add_u32 s14, s14, 8
	s_addc_u32 s15, s15, 0
	s_add_u32 s20, s20, 8
	s_delay_alu instid0(VALU_DEP_1) | instskip(SKIP_2) | instid1(VALU_DEP_2)
	v_add3_u32 v4, v8, v9, v4
	v_sub_co_u32 v8, vcc_lo, v5, v7
	s_addc_u32 s21, s21, 0
	v_sub_co_ci_u32_e32 v6, vcc_lo, v6, v4, vcc_lo
	s_waitcnt lgkmcnt(0)
	s_delay_alu instid0(VALU_DEP_2)
	v_mad_u64_u32 v[4:5], null, s2, v8, v[1:2]
	scratch_load_b64 v[1:2], off, off offset:8 ; 8-byte Folded Reload
	v_mul_lo_u32 v9, s2, v6
	v_mul_lo_u32 v10, s3, v8
	v_cmp_ge_u64_e64 s2, s[22:23], s[10:11]
	v_mul_lo_u32 v11, s24, v6
	v_mul_lo_u32 v12, s25, v8
	s_delay_alu instid0(VALU_DEP_3) | instskip(SKIP_4) | instid1(VALU_DEP_3)
	s_and_b32 vcc_lo, exec_lo, s2
	s_waitcnt vmcnt(0)
	v_mad_u64_u32 v[6:7], null, s24, v8, v[1:2]
	v_add3_u32 v2, v10, v5, v9
	v_mov_b32_e32 v1, v4
	v_add3_u32 v7, v12, v7, v11
	scratch_store_b64 off, v[6:7], off offset:8 ; 8-byte Folded Spill
	s_cbranch_vccnz .LBB0_9
; %bb.7:                                ;   in Loop: Header=BB0_2 Depth=1
	v_dual_mov_b32 v5, v13 :: v_dual_mov_b32 v6, v14
	s_branch .LBB0_2
.LBB0_8:
	s_clause 0x1
	scratch_store_b64 off, v[1:2], off offset:8
	scratch_store_b64 off, v[5:6], off
.LBB0_9:
	scratch_load_b64 v[4:5], off, off       ; 8-byte Folded Reload
	s_load_b64 s[0:1], s[0:1], 0x28
	v_mul_hi_u32 v3, 0x4924925, v0
	s_lshl_b64 s[10:11], s[10:11], 3
                                        ; implicit-def: $vgpr168
	s_delay_alu instid0(SALU_CYCLE_1) | instskip(SKIP_4) | instid1(VALU_DEP_1)
	s_add_u32 s2, s18, s10
	s_addc_u32 s3, s19, s11
	s_waitcnt vmcnt(0) lgkmcnt(0)
	v_cmp_gt_u64_e32 vcc_lo, s[0:1], v[4:5]
	v_cmp_le_u64_e64 s0, s[0:1], v[4:5]
	s_and_saveexec_b32 s1, s0
	s_delay_alu instid0(SALU_CYCLE_1)
	s_xor_b32 s0, exec_lo, s1
; %bb.10:
	v_mul_u32_u24_e32 v1, 56, v3
                                        ; implicit-def: $vgpr3
	s_delay_alu instid0(VALU_DEP_1)
	v_sub_nc_u32_e32 v168, v0, v1
                                        ; implicit-def: $vgpr0
                                        ; implicit-def: $vgpr1_vgpr2
; %bb.11:
	s_or_saveexec_b32 s1, s0
	s_load_b64 s[2:3], s[2:3], 0x0
	s_xor_b32 exec_lo, exec_lo, s1
	s_cbranch_execz .LBB0_15
; %bb.12:
	scratch_load_b64 v[8:9], off, off       ; 8-byte Folded Reload
	s_add_u32 s10, s16, s10
	s_addc_u32 s11, s17, s11
	v_mul_u32_u24_e32 v3, 56, v3
	s_load_b64 s[10:11], s[10:11], 0x0
	s_delay_alu instid0(VALU_DEP_1) | instskip(SKIP_1) | instid1(VALU_DEP_2)
	v_sub_nc_u32_e32 v168, v0, v3
	v_lshlrev_b64 v[0:1], 4, v[1:2]
	v_lshlrev_b32_e32 v142, 4, v168
	s_delay_alu instid0(VALU_DEP_1)
	v_or_b32_e32 v2, 0x1c00, v142
	v_or_b32_e32 v60, 0x7000, v142
	s_waitcnt vmcnt(0) lgkmcnt(0)
	v_mul_lo_u32 v6, s11, v8
	v_mul_lo_u32 v7, s10, v9
	v_mad_u64_u32 v[4:5], null, s10, v8, 0
	s_delay_alu instid0(VALU_DEP_1) | instskip(SKIP_1) | instid1(VALU_DEP_2)
	v_add3_u32 v5, v5, v7, v6
	v_or_b32_e32 v6, 0x5400, v142
	v_lshlrev_b64 v[3:4], 4, v[4:5]
	v_or_b32_e32 v5, 0x3800, v142
	s_delay_alu instid0(VALU_DEP_2) | instskip(NEXT) | instid1(VALU_DEP_1)
	v_add_co_u32 v3, s0, s4, v3
	v_add_co_ci_u32_e64 v4, s0, s5, v4, s0
	s_delay_alu instid0(VALU_DEP_2) | instskip(NEXT) | instid1(VALU_DEP_1)
	v_add_co_u32 v0, s0, v3, v0
	v_add_co_ci_u32_e64 v1, s0, v4, v1, s0
	;; [unrolled: 3-line block ×3, first 2 shown]
	v_add_co_u32 v34, s0, v0, v2
	s_delay_alu instid0(VALU_DEP_1) | instskip(SKIP_1) | instid1(VALU_DEP_1)
	v_add_co_ci_u32_e64 v35, s0, 0, v1, s0
	v_add_co_u32 v66, s0, v0, v5
	v_add_co_ci_u32_e64 v67, s0, 0, v1, s0
	v_add_co_u32 v98, s0, v0, v6
	s_delay_alu instid0(VALU_DEP_1) | instskip(SKIP_1) | instid1(VALU_DEP_1)
	v_add_co_ci_u32_e64 v99, s0, 0, v1, s0
	v_add_co_u32 v38, s0, 0x1000, v58
	v_add_co_ci_u32_e64 v39, s0, 0, v59, s0
	;; [unrolled: 5-line block ×5, first 2 shown]
	v_add_co_u32 v138, s0, 0x7000, v58
	s_delay_alu instid0(VALU_DEP_1)
	v_add_co_ci_u32_e64 v139, s0, 0, v59, s0
	s_clause 0x1f
	global_load_b128 v[2:5], v[58:59], off
	global_load_b128 v[6:9], v[58:59], off offset:896
	global_load_b128 v[10:13], v[58:59], off offset:1792
	global_load_b128 v[14:17], v[58:59], off offset:2688
	global_load_b128 v[18:21], v[58:59], off offset:3584
	global_load_b128 v[22:25], v[38:39], off offset:384
	global_load_b128 v[26:29], v[38:39], off offset:1280
	global_load_b128 v[30:33], v[38:39], off offset:2176
	global_load_b128 v[34:37], v[34:35], off
	global_load_b128 v[38:41], v[38:39], off offset:3968
	global_load_b128 v[42:45], v[54:55], off offset:768
	global_load_b128 v[46:49], v[54:55], off offset:1664
	global_load_b128 v[50:53], v[54:55], off offset:2560
	global_load_b128 v[54:57], v[54:55], off offset:3456
	global_load_b128 v[58:61], v[74:75], off offset:256
	global_load_b128 v[62:65], v[74:75], off offset:1152
	;; [unrolled: 8-line block ×4, first 2 shown]
	s_clause 0x2
	global_load_b128 v[130:133], v[130:131], off
	global_load_b128 v[134:137], v[138:139], off offset:896
	global_load_b128 v[138:141], v[138:139], off offset:1792
	v_add_nc_u32_e32 v142, 0, v142
	v_cmp_eq_u32_e64 s0, 55, v168
	s_waitcnt vmcnt(34)
	ds_store_b128 v142, v[2:5]
	s_waitcnt vmcnt(33)
	ds_store_b128 v142, v[6:9] offset:896
	s_waitcnt vmcnt(32)
	ds_store_b128 v142, v[10:13] offset:1792
	s_waitcnt vmcnt(31)
	ds_store_b128 v142, v[14:17] offset:2688
	s_waitcnt vmcnt(30)
	ds_store_b128 v142, v[18:21] offset:3584
	s_waitcnt vmcnt(29)
	ds_store_b128 v142, v[22:25] offset:4480
	s_waitcnt vmcnt(28)
	ds_store_b128 v142, v[26:29] offset:5376
	s_waitcnt vmcnt(27)
	ds_store_b128 v142, v[30:33] offset:6272
	s_waitcnt vmcnt(26)
	ds_store_b128 v142, v[34:37] offset:7168
	s_waitcnt vmcnt(25)
	ds_store_b128 v142, v[38:41] offset:8064
	s_waitcnt vmcnt(24)
	ds_store_b128 v142, v[42:45] offset:8960
	s_waitcnt vmcnt(23)
	ds_store_b128 v142, v[46:49] offset:9856
	s_waitcnt vmcnt(22)
	ds_store_b128 v142, v[50:53] offset:10752
	s_waitcnt vmcnt(21)
	ds_store_b128 v142, v[54:57] offset:11648
	s_waitcnt vmcnt(20)
	ds_store_b128 v142, v[58:61] offset:12544
	s_waitcnt vmcnt(19)
	ds_store_b128 v142, v[62:65] offset:13440
	s_waitcnt vmcnt(18)
	ds_store_b128 v142, v[66:69] offset:14336
	s_waitcnt vmcnt(17)
	ds_store_b128 v142, v[70:73] offset:15232
	s_waitcnt vmcnt(16)
	ds_store_b128 v142, v[74:77] offset:16128
	s_waitcnt vmcnt(15)
	ds_store_b128 v142, v[78:81] offset:17024
	s_waitcnt vmcnt(14)
	ds_store_b128 v142, v[82:85] offset:17920
	s_waitcnt vmcnt(13)
	ds_store_b128 v142, v[86:89] offset:18816
	s_waitcnt vmcnt(12)
	ds_store_b128 v142, v[90:93] offset:19712
	s_waitcnt vmcnt(11)
	ds_store_b128 v142, v[94:97] offset:20608
	s_waitcnt vmcnt(10)
	ds_store_b128 v142, v[98:101] offset:21504
	s_waitcnt vmcnt(9)
	ds_store_b128 v142, v[102:105] offset:22400
	s_waitcnt vmcnt(8)
	ds_store_b128 v142, v[106:109] offset:23296
	s_waitcnt vmcnt(7)
	ds_store_b128 v142, v[110:113] offset:24192
	s_waitcnt vmcnt(6)
	ds_store_b128 v142, v[114:117] offset:25088
	s_waitcnt vmcnt(5)
	ds_store_b128 v142, v[118:121] offset:25984
	s_waitcnt vmcnt(4)
	ds_store_b128 v142, v[122:125] offset:26880
	s_waitcnt vmcnt(3)
	ds_store_b128 v142, v[126:129] offset:27776
	s_waitcnt vmcnt(2)
	ds_store_b128 v142, v[130:133] offset:28672
	s_waitcnt vmcnt(1)
	ds_store_b128 v142, v[134:137] offset:29568
	s_waitcnt vmcnt(0)
	ds_store_b128 v142, v[138:141] offset:30464
	s_and_saveexec_b32 s4, s0
	s_cbranch_execz .LBB0_14
; %bb.13:
	v_add_co_u32 v0, s0, 0x7000, v0
	s_delay_alu instid0(VALU_DEP_1)
	v_add_co_ci_u32_e64 v1, s0, 0, v1, s0
	v_mov_b32_e32 v4, 0
	v_mov_b32_e32 v168, 55
	global_load_b128 v[0:3], v[0:1], off offset:2688
	s_waitcnt vmcnt(0)
	ds_store_b128 v4, v[0:3] offset:31360
.LBB0_14:
	s_or_b32 exec_lo, exec_lo, s4
.LBB0_15:
	s_delay_alu instid0(SALU_CYCLE_1)
	s_or_b32 exec_lo, exec_lo, s1
	v_lshlrev_b32_e32 v0, 4, v168
	s_waitcnt lgkmcnt(0)
	s_waitcnt_vscnt null, 0x0
	s_barrier
	buffer_gl0_inv
	s_add_u32 s1, s8, 0x7a40
	v_add_nc_u32_e32 v240, 0, v0
	v_sub_nc_u32_e32 v10, 0, v0
	s_addc_u32 s4, s9, 0
	s_mov_b32 s5, exec_lo
                                        ; implicit-def: $vgpr4_vgpr5
	ds_load_b64 v[6:7], v240
	ds_load_b64 v[8:9], v10 offset:31360
	s_waitcnt lgkmcnt(0)
	v_add_f64 v[0:1], v[6:7], v[8:9]
	v_add_f64 v[2:3], v[6:7], -v[8:9]
	v_cmpx_ne_u32_e32 0, v168
	s_xor_b32 s5, exec_lo, s5
	s_cbranch_execz .LBB0_17
; %bb.16:
	v_mov_b32_e32 v169, 0
	v_add_f64 v[13:14], v[6:7], v[8:9]
	v_add_f64 v[15:16], v[6:7], -v[8:9]
	s_delay_alu instid0(VALU_DEP_3) | instskip(NEXT) | instid1(VALU_DEP_1)
	v_lshlrev_b64 v[0:1], 4, v[168:169]
	v_add_co_u32 v0, s0, s1, v0
	s_delay_alu instid0(VALU_DEP_1)
	v_add_co_ci_u32_e64 v1, s0, s4, v1, s0
	global_load_b128 v[2:5], v[0:1], off
	ds_load_b64 v[0:1], v10 offset:31368
	ds_load_b64 v[11:12], v240 offset:8
	s_waitcnt lgkmcnt(0)
	v_add_f64 v[6:7], v[0:1], v[11:12]
	v_add_f64 v[0:1], v[11:12], -v[0:1]
	s_waitcnt vmcnt(0)
	v_fma_f64 v[8:9], v[15:16], v[4:5], v[13:14]
	v_fma_f64 v[11:12], -v[15:16], v[4:5], v[13:14]
	s_delay_alu instid0(VALU_DEP_3) | instskip(SKIP_1) | instid1(VALU_DEP_4)
	v_fma_f64 v[13:14], v[6:7], v[4:5], -v[0:1]
	v_fma_f64 v[4:5], v[6:7], v[4:5], v[0:1]
	v_fma_f64 v[0:1], -v[6:7], v[2:3], v[8:9]
	s_delay_alu instid0(VALU_DEP_4) | instskip(NEXT) | instid1(VALU_DEP_4)
	v_fma_f64 v[6:7], v[6:7], v[2:3], v[11:12]
	v_fma_f64 v[8:9], v[15:16], v[2:3], v[13:14]
	s_delay_alu instid0(VALU_DEP_4)
	v_fma_f64 v[2:3], v[15:16], v[2:3], v[4:5]
	v_dual_mov_b32 v4, v168 :: v_dual_mov_b32 v5, v169
	ds_store_b128 v10, v[6:9] offset:31360
.LBB0_17:
	s_and_not1_saveexec_b32 s0, s5
	s_cbranch_execz .LBB0_19
; %bb.18:
	v_mov_b32_e32 v8, 0
	ds_load_b128 v[4:7], v8 offset:15680
	s_waitcnt lgkmcnt(0)
	v_add_f64 v[11:12], v[4:5], v[4:5]
	v_mul_f64 v[13:14], v[6:7], -2.0
	v_mov_b32_e32 v4, 0
	v_mov_b32_e32 v5, 0
	ds_store_b128 v8, v[11:14] offset:15680
.LBB0_19:
	s_or_b32 exec_lo, exec_lo, s0
	v_lshlrev_b64 v[4:5], 4, v[4:5]
	v_or_b32_e32 v31, 0x1c0, v168
	v_mov_b32_e32 v32, 0
	v_or_b32_e32 v177, 0x380, v168
	s_delay_alu instid0(VALU_DEP_4) | instskip(NEXT) | instid1(VALU_DEP_1)
	v_add_co_u32 v4, s0, s1, v4
	v_add_co_ci_u32_e64 v5, s0, s4, v5, s0
	s_delay_alu instid0(VALU_DEP_4)
	v_mov_b32_e32 v178, v32
	s_clause 0x1
	global_load_b128 v[6:9], v[4:5], off offset:896
	global_load_b128 v[11:14], v[4:5], off offset:1792
	ds_store_b128 v240, v[0:3]
	ds_load_b128 v[0:3], v240 offset:896
	ds_load_b128 v[15:18], v10 offset:30464
	global_load_b128 v[19:22], v[4:5], off offset:2688
	s_waitcnt lgkmcnt(0)
	v_add_f64 v[23:24], v[0:1], v[15:16]
	v_add_f64 v[25:26], v[17:18], v[2:3]
	v_add_f64 v[27:28], v[0:1], -v[15:16]
	v_add_f64 v[0:1], v[2:3], -v[17:18]
	s_waitcnt vmcnt(2)
	s_delay_alu instid0(VALU_DEP_2) | instskip(NEXT) | instid1(VALU_DEP_2)
	v_fma_f64 v[2:3], v[27:28], v[8:9], v[23:24]
	v_fma_f64 v[15:16], v[25:26], v[8:9], v[0:1]
	v_fma_f64 v[17:18], -v[27:28], v[8:9], v[23:24]
	v_fma_f64 v[8:9], v[25:26], v[8:9], -v[0:1]
	s_delay_alu instid0(VALU_DEP_4) | instskip(NEXT) | instid1(VALU_DEP_4)
	v_fma_f64 v[0:1], -v[25:26], v[6:7], v[2:3]
	v_fma_f64 v[2:3], v[27:28], v[6:7], v[15:16]
	s_delay_alu instid0(VALU_DEP_4) | instskip(NEXT) | instid1(VALU_DEP_4)
	v_fma_f64 v[15:16], v[25:26], v[6:7], v[17:18]
	v_fma_f64 v[17:18], v[27:28], v[6:7], v[8:9]
	ds_store_b128 v240, v[0:3] offset:896
	ds_store_b128 v10, v[15:18] offset:30464
	ds_load_b128 v[0:3], v240 offset:1792
	ds_load_b128 v[6:9], v10 offset:29568
	global_load_b128 v[15:18], v[4:5], off offset:3584
	s_waitcnt lgkmcnt(0)
	v_add_f64 v[23:24], v[0:1], v[6:7]
	v_add_f64 v[25:26], v[8:9], v[2:3]
	v_add_f64 v[27:28], v[0:1], -v[6:7]
	v_add_f64 v[0:1], v[2:3], -v[8:9]
	s_waitcnt vmcnt(2)
	s_delay_alu instid0(VALU_DEP_2) | instskip(NEXT) | instid1(VALU_DEP_2)
	v_fma_f64 v[2:3], v[27:28], v[13:14], v[23:24]
	v_fma_f64 v[6:7], v[25:26], v[13:14], v[0:1]
	v_fma_f64 v[8:9], -v[27:28], v[13:14], v[23:24]
	v_fma_f64 v[13:14], v[25:26], v[13:14], -v[0:1]
	v_add_co_u32 v23, s0, 0x1000, v4
	s_delay_alu instid0(VALU_DEP_1)
	v_add_co_ci_u32_e64 v24, s0, 0, v5, s0
	v_fma_f64 v[0:1], -v[25:26], v[11:12], v[2:3]
	v_fma_f64 v[2:3], v[27:28], v[11:12], v[6:7]
	v_fma_f64 v[6:7], v[25:26], v[11:12], v[8:9]
	;; [unrolled: 1-line block ×3, first 2 shown]
	ds_store_b128 v240, v[0:3] offset:1792
	ds_store_b128 v10, v[6:9] offset:29568
	ds_load_b128 v[0:3], v240 offset:2688
	ds_load_b128 v[6:9], v10 offset:28672
	global_load_b128 v[11:14], v[23:24], off offset:384
	s_waitcnt lgkmcnt(0)
	v_add_f64 v[25:26], v[0:1], v[6:7]
	v_add_f64 v[27:28], v[8:9], v[2:3]
	v_add_f64 v[29:30], v[0:1], -v[6:7]
	v_add_f64 v[0:1], v[2:3], -v[8:9]
	s_waitcnt vmcnt(2)
	s_delay_alu instid0(VALU_DEP_2) | instskip(NEXT) | instid1(VALU_DEP_2)
	v_fma_f64 v[2:3], v[29:30], v[21:22], v[25:26]
	v_fma_f64 v[6:7], v[27:28], v[21:22], v[0:1]
	v_fma_f64 v[8:9], -v[29:30], v[21:22], v[25:26]
	v_fma_f64 v[21:22], v[27:28], v[21:22], -v[0:1]
	s_delay_alu instid0(VALU_DEP_4) | instskip(NEXT) | instid1(VALU_DEP_4)
	v_fma_f64 v[0:1], -v[27:28], v[19:20], v[2:3]
	v_fma_f64 v[2:3], v[29:30], v[19:20], v[6:7]
	s_delay_alu instid0(VALU_DEP_4) | instskip(NEXT) | instid1(VALU_DEP_4)
	v_fma_f64 v[6:7], v[27:28], v[19:20], v[8:9]
	v_fma_f64 v[8:9], v[29:30], v[19:20], v[21:22]
	ds_store_b128 v240, v[0:3] offset:2688
	ds_store_b128 v10, v[6:9] offset:28672
	ds_load_b128 v[0:3], v240 offset:3584
	ds_load_b128 v[6:9], v10 offset:27776
	global_load_b128 v[19:22], v[23:24], off offset:1280
	s_waitcnt lgkmcnt(0)
	v_add_f64 v[25:26], v[0:1], v[6:7]
	v_add_f64 v[27:28], v[8:9], v[2:3]
	v_add_f64 v[29:30], v[0:1], -v[6:7]
	v_add_f64 v[0:1], v[2:3], -v[8:9]
	s_waitcnt vmcnt(2)
	s_delay_alu instid0(VALU_DEP_2) | instskip(NEXT) | instid1(VALU_DEP_2)
	v_fma_f64 v[2:3], v[29:30], v[17:18], v[25:26]
	v_fma_f64 v[6:7], v[27:28], v[17:18], v[0:1]
	v_fma_f64 v[8:9], -v[29:30], v[17:18], v[25:26]
	v_fma_f64 v[17:18], v[27:28], v[17:18], -v[0:1]
	s_delay_alu instid0(VALU_DEP_4) | instskip(NEXT) | instid1(VALU_DEP_4)
	v_fma_f64 v[0:1], -v[27:28], v[15:16], v[2:3]
	v_fma_f64 v[2:3], v[29:30], v[15:16], v[6:7]
	s_delay_alu instid0(VALU_DEP_4) | instskip(NEXT) | instid1(VALU_DEP_4)
	v_fma_f64 v[6:7], v[27:28], v[15:16], v[8:9]
	v_fma_f64 v[8:9], v[29:30], v[15:16], v[17:18]
	;; [unrolled: 22-line block ×3, first 2 shown]
	v_lshlrev_b64 v[11:12], 4, v[31:32]
	ds_store_b128 v240, v[0:3] offset:4480
	ds_store_b128 v10, v[6:9] offset:26880
	ds_load_b128 v[0:3], v240 offset:5376
	ds_load_b128 v[6:9], v10 offset:25984
	v_add_co_u32 v11, s0, s1, v11
	s_delay_alu instid0(VALU_DEP_1)
	v_add_co_ci_u32_e64 v12, s0, s4, v12, s0
	global_load_b128 v[11:14], v[11:12], off
	s_waitcnt lgkmcnt(0)
	v_add_f64 v[25:26], v[0:1], v[6:7]
	v_add_f64 v[27:28], v[8:9], v[2:3]
	v_add_f64 v[29:30], v[0:1], -v[6:7]
	v_add_f64 v[0:1], v[2:3], -v[8:9]
	s_waitcnt vmcnt(2)
	s_delay_alu instid0(VALU_DEP_2) | instskip(NEXT) | instid1(VALU_DEP_2)
	v_fma_f64 v[2:3], v[29:30], v[21:22], v[25:26]
	v_fma_f64 v[6:7], v[27:28], v[21:22], v[0:1]
	v_fma_f64 v[8:9], -v[29:30], v[21:22], v[25:26]
	v_fma_f64 v[21:22], v[27:28], v[21:22], -v[0:1]
	s_delay_alu instid0(VALU_DEP_4) | instskip(NEXT) | instid1(VALU_DEP_4)
	v_fma_f64 v[0:1], -v[27:28], v[19:20], v[2:3]
	v_fma_f64 v[2:3], v[29:30], v[19:20], v[6:7]
	s_delay_alu instid0(VALU_DEP_4) | instskip(NEXT) | instid1(VALU_DEP_4)
	v_fma_f64 v[6:7], v[27:28], v[19:20], v[8:9]
	v_fma_f64 v[8:9], v[29:30], v[19:20], v[21:22]
	ds_store_b128 v240, v[0:3] offset:5376
	ds_store_b128 v10, v[6:9] offset:25984
	ds_load_b128 v[0:3], v240 offset:6272
	ds_load_b128 v[6:9], v10 offset:25088
	global_load_b128 v[19:22], v[23:24], off offset:3968
	s_waitcnt lgkmcnt(0)
	v_add_f64 v[23:24], v[0:1], v[6:7]
	v_add_f64 v[25:26], v[8:9], v[2:3]
	v_add_f64 v[27:28], v[0:1], -v[6:7]
	v_add_f64 v[0:1], v[2:3], -v[8:9]
	s_waitcnt vmcnt(2)
	s_delay_alu instid0(VALU_DEP_2) | instskip(NEXT) | instid1(VALU_DEP_2)
	v_fma_f64 v[2:3], v[27:28], v[17:18], v[23:24]
	v_fma_f64 v[6:7], v[25:26], v[17:18], v[0:1]
	v_fma_f64 v[8:9], -v[27:28], v[17:18], v[23:24]
	v_fma_f64 v[17:18], v[25:26], v[17:18], -v[0:1]
	v_add_co_u32 v23, s0, 0x2000, v4
	s_delay_alu instid0(VALU_DEP_1)
	v_add_co_ci_u32_e64 v24, s0, 0, v5, s0
	v_fma_f64 v[0:1], -v[25:26], v[15:16], v[2:3]
	v_fma_f64 v[2:3], v[27:28], v[15:16], v[6:7]
	v_fma_f64 v[6:7], v[25:26], v[15:16], v[8:9]
	;; [unrolled: 1-line block ×3, first 2 shown]
	ds_store_b128 v240, v[0:3] offset:6272
	ds_store_b128 v10, v[6:9] offset:25088
	ds_load_b128 v[0:3], v240 offset:7168
	ds_load_b128 v[6:9], v10 offset:24192
	global_load_b128 v[15:18], v[23:24], off offset:768
	s_waitcnt lgkmcnt(0)
	v_add_f64 v[25:26], v[0:1], v[6:7]
	v_add_f64 v[27:28], v[8:9], v[2:3]
	v_add_f64 v[29:30], v[0:1], -v[6:7]
	v_add_f64 v[0:1], v[2:3], -v[8:9]
	s_waitcnt vmcnt(2)
	s_delay_alu instid0(VALU_DEP_2) | instskip(NEXT) | instid1(VALU_DEP_2)
	v_fma_f64 v[2:3], v[29:30], v[13:14], v[25:26]
	v_fma_f64 v[6:7], v[27:28], v[13:14], v[0:1]
	v_fma_f64 v[8:9], -v[29:30], v[13:14], v[25:26]
	v_fma_f64 v[13:14], v[27:28], v[13:14], -v[0:1]
	s_delay_alu instid0(VALU_DEP_4) | instskip(NEXT) | instid1(VALU_DEP_4)
	v_fma_f64 v[0:1], -v[27:28], v[11:12], v[2:3]
	v_fma_f64 v[2:3], v[29:30], v[11:12], v[6:7]
	s_delay_alu instid0(VALU_DEP_4) | instskip(NEXT) | instid1(VALU_DEP_4)
	v_fma_f64 v[6:7], v[27:28], v[11:12], v[8:9]
	v_fma_f64 v[8:9], v[29:30], v[11:12], v[13:14]
	ds_store_b128 v240, v[0:3] offset:7168
	ds_store_b128 v10, v[6:9] offset:24192
	ds_load_b128 v[0:3], v240 offset:8064
	ds_load_b128 v[6:9], v10 offset:23296
	global_load_b128 v[11:14], v[23:24], off offset:1664
	s_waitcnt lgkmcnt(0)
	v_add_f64 v[25:26], v[0:1], v[6:7]
	v_add_f64 v[27:28], v[8:9], v[2:3]
	v_add_f64 v[29:30], v[0:1], -v[6:7]
	v_add_f64 v[0:1], v[2:3], -v[8:9]
	s_waitcnt vmcnt(2)
	s_delay_alu instid0(VALU_DEP_2) | instskip(NEXT) | instid1(VALU_DEP_2)
	v_fma_f64 v[2:3], v[29:30], v[21:22], v[25:26]
	v_fma_f64 v[6:7], v[27:28], v[21:22], v[0:1]
	v_fma_f64 v[8:9], -v[29:30], v[21:22], v[25:26]
	v_fma_f64 v[21:22], v[27:28], v[21:22], -v[0:1]
	s_delay_alu instid0(VALU_DEP_4) | instskip(NEXT) | instid1(VALU_DEP_4)
	v_fma_f64 v[0:1], -v[27:28], v[19:20], v[2:3]
	v_fma_f64 v[2:3], v[29:30], v[19:20], v[6:7]
	s_delay_alu instid0(VALU_DEP_4) | instskip(NEXT) | instid1(VALU_DEP_4)
	v_fma_f64 v[6:7], v[27:28], v[19:20], v[8:9]
	v_fma_f64 v[8:9], v[29:30], v[19:20], v[21:22]
	;; [unrolled: 22-line block ×4, first 2 shown]
	ds_store_b128 v240, v[0:3] offset:9856
	ds_store_b128 v10, v[6:9] offset:21504
	ds_load_b128 v[6:9], v240 offset:10752
	ds_load_b128 v[11:14], v10 offset:20608
	v_add_co_u32 v0, s0, 0x3000, v4
	s_delay_alu instid0(VALU_DEP_1)
	v_add_co_ci_u32_e64 v1, s0, 0, v5, s0
	global_load_b128 v[2:5], v[0:1], off offset:256
	s_waitcnt lgkmcnt(0)
	v_add_f64 v[23:24], v[6:7], v[11:12]
	v_add_f64 v[25:26], v[13:14], v[8:9]
	v_add_f64 v[27:28], v[6:7], -v[11:12]
	v_add_f64 v[6:7], v[8:9], -v[13:14]
	s_waitcnt vmcnt(2)
	s_delay_alu instid0(VALU_DEP_2) | instskip(NEXT) | instid1(VALU_DEP_2)
	v_fma_f64 v[8:9], v[27:28], v[21:22], v[23:24]
	v_fma_f64 v[11:12], v[25:26], v[21:22], v[6:7]
	v_fma_f64 v[13:14], -v[27:28], v[21:22], v[23:24]
	v_fma_f64 v[21:22], v[25:26], v[21:22], -v[6:7]
	s_delay_alu instid0(VALU_DEP_4) | instskip(NEXT) | instid1(VALU_DEP_4)
	v_fma_f64 v[6:7], -v[25:26], v[19:20], v[8:9]
	v_fma_f64 v[8:9], v[27:28], v[19:20], v[11:12]
	s_delay_alu instid0(VALU_DEP_4) | instskip(NEXT) | instid1(VALU_DEP_4)
	v_fma_f64 v[11:12], v[25:26], v[19:20], v[13:14]
	v_fma_f64 v[13:14], v[27:28], v[19:20], v[21:22]
	ds_store_b128 v240, v[6:9] offset:10752
	ds_store_b128 v10, v[11:14] offset:20608
	ds_load_b128 v[6:9], v240 offset:11648
	ds_load_b128 v[11:14], v10 offset:19712
	global_load_b128 v[19:22], v[0:1], off offset:1152
	s_waitcnt lgkmcnt(0)
	v_add_f64 v[23:24], v[6:7], v[11:12]
	v_add_f64 v[25:26], v[13:14], v[8:9]
	v_add_f64 v[27:28], v[6:7], -v[11:12]
	v_add_f64 v[6:7], v[8:9], -v[13:14]
	s_waitcnt vmcnt(2)
	s_delay_alu instid0(VALU_DEP_2) | instskip(NEXT) | instid1(VALU_DEP_2)
	v_fma_f64 v[8:9], v[27:28], v[17:18], v[23:24]
	v_fma_f64 v[11:12], v[25:26], v[17:18], v[6:7]
	v_fma_f64 v[13:14], -v[27:28], v[17:18], v[23:24]
	v_fma_f64 v[17:18], v[25:26], v[17:18], -v[6:7]
	s_delay_alu instid0(VALU_DEP_4) | instskip(NEXT) | instid1(VALU_DEP_4)
	v_fma_f64 v[6:7], -v[25:26], v[15:16], v[8:9]
	v_fma_f64 v[8:9], v[27:28], v[15:16], v[11:12]
	s_delay_alu instid0(VALU_DEP_4) | instskip(NEXT) | instid1(VALU_DEP_4)
	v_fma_f64 v[11:12], v[25:26], v[15:16], v[13:14]
	v_fma_f64 v[13:14], v[27:28], v[15:16], v[17:18]
	v_lshlrev_b64 v[15:16], 4, v[177:178]
	ds_store_b128 v240, v[6:9] offset:11648
	ds_store_b128 v10, v[11:14] offset:19712
	ds_load_b128 v[6:9], v240 offset:12544
	ds_load_b128 v[11:14], v10 offset:18816
	v_add_co_u32 v15, s0, s1, v15
	s_delay_alu instid0(VALU_DEP_1)
	v_add_co_ci_u32_e64 v16, s0, s4, v16, s0
	scratch_store_b64 off, v[31:32], off offset:16 ; 8-byte Folded Spill
	v_cmp_gt_u32_e64 s0, 28, v168
	global_load_b128 v[15:18], v[15:16], off
	s_waitcnt lgkmcnt(0)
	v_add_f64 v[23:24], v[6:7], v[11:12]
	v_add_f64 v[25:26], v[13:14], v[8:9]
	v_add_f64 v[27:28], v[6:7], -v[11:12]
	v_add_f64 v[6:7], v[8:9], -v[13:14]
	s_waitcnt vmcnt(2)
	s_delay_alu instid0(VALU_DEP_2) | instskip(NEXT) | instid1(VALU_DEP_2)
	v_fma_f64 v[8:9], v[27:28], v[4:5], v[23:24]
	v_fma_f64 v[11:12], v[25:26], v[4:5], v[6:7]
	v_fma_f64 v[13:14], -v[27:28], v[4:5], v[23:24]
	v_fma_f64 v[23:24], v[25:26], v[4:5], -v[6:7]
	s_delay_alu instid0(VALU_DEP_4) | instskip(NEXT) | instid1(VALU_DEP_4)
	v_fma_f64 v[4:5], -v[25:26], v[2:3], v[8:9]
	v_fma_f64 v[6:7], v[27:28], v[2:3], v[11:12]
	s_delay_alu instid0(VALU_DEP_4) | instskip(NEXT) | instid1(VALU_DEP_4)
	v_fma_f64 v[11:12], v[25:26], v[2:3], v[13:14]
	v_fma_f64 v[13:14], v[27:28], v[2:3], v[23:24]
	ds_store_b128 v240, v[4:7] offset:12544
	ds_store_b128 v10, v[11:14] offset:18816
	ds_load_b128 v[2:5], v240 offset:13440
	ds_load_b128 v[6:9], v10 offset:17920
	s_waitcnt lgkmcnt(0)
	v_add_f64 v[11:12], v[2:3], v[6:7]
	v_add_f64 v[13:14], v[8:9], v[4:5]
	v_add_f64 v[23:24], v[2:3], -v[6:7]
	v_add_f64 v[2:3], v[4:5], -v[8:9]
	s_waitcnt vmcnt(1)
	s_delay_alu instid0(VALU_DEP_2) | instskip(NEXT) | instid1(VALU_DEP_2)
	v_fma_f64 v[4:5], v[23:24], v[21:22], v[11:12]
	v_fma_f64 v[6:7], v[13:14], v[21:22], v[2:3]
	v_fma_f64 v[8:9], -v[23:24], v[21:22], v[11:12]
	v_fma_f64 v[11:12], v[13:14], v[21:22], -v[2:3]
	s_delay_alu instid0(VALU_DEP_4) | instskip(NEXT) | instid1(VALU_DEP_4)
	v_fma_f64 v[2:3], -v[13:14], v[19:20], v[4:5]
	v_fma_f64 v[4:5], v[23:24], v[19:20], v[6:7]
	s_delay_alu instid0(VALU_DEP_4) | instskip(NEXT) | instid1(VALU_DEP_4)
	v_fma_f64 v[6:7], v[13:14], v[19:20], v[8:9]
	v_fma_f64 v[8:9], v[23:24], v[19:20], v[11:12]
	ds_store_b128 v240, v[2:5] offset:13440
	ds_store_b128 v10, v[6:9] offset:17920
	ds_load_b128 v[2:5], v240 offset:14336
	ds_load_b128 v[6:9], v10 offset:17024
	s_waitcnt lgkmcnt(0)
	v_add_f64 v[11:12], v[2:3], v[6:7]
	v_add_f64 v[13:14], v[8:9], v[4:5]
	v_add_f64 v[19:20], v[2:3], -v[6:7]
	v_add_f64 v[2:3], v[4:5], -v[8:9]
	s_waitcnt vmcnt(0)
	s_delay_alu instid0(VALU_DEP_2) | instskip(NEXT) | instid1(VALU_DEP_2)
	v_fma_f64 v[4:5], v[19:20], v[17:18], v[11:12]
	v_fma_f64 v[6:7], v[13:14], v[17:18], v[2:3]
	v_fma_f64 v[8:9], -v[19:20], v[17:18], v[11:12]
	v_fma_f64 v[11:12], v[13:14], v[17:18], -v[2:3]
	s_delay_alu instid0(VALU_DEP_4) | instskip(NEXT) | instid1(VALU_DEP_4)
	v_fma_f64 v[2:3], -v[13:14], v[15:16], v[4:5]
	v_fma_f64 v[4:5], v[19:20], v[15:16], v[6:7]
	s_delay_alu instid0(VALU_DEP_4) | instskip(NEXT) | instid1(VALU_DEP_4)
	v_fma_f64 v[6:7], v[13:14], v[15:16], v[8:9]
	v_fma_f64 v[8:9], v[19:20], v[15:16], v[11:12]
	ds_store_b128 v240, v[2:5] offset:14336
	ds_store_b128 v10, v[6:9] offset:17024
	s_and_saveexec_b32 s1, s0
	s_cbranch_execz .LBB0_21
; %bb.20:
	global_load_b128 v[0:3], v[0:1], off offset:2944
	ds_load_b128 v[4:7], v240 offset:15232
	ds_load_b128 v[11:14], v10 offset:16128
	s_waitcnt lgkmcnt(0)
	v_add_f64 v[8:9], v[4:5], v[11:12]
	v_add_f64 v[15:16], v[13:14], v[6:7]
	v_add_f64 v[11:12], v[4:5], -v[11:12]
	v_add_f64 v[4:5], v[6:7], -v[13:14]
	s_waitcnt vmcnt(0)
	s_delay_alu instid0(VALU_DEP_2) | instskip(NEXT) | instid1(VALU_DEP_2)
	v_fma_f64 v[6:7], v[11:12], v[2:3], v[8:9]
	v_fma_f64 v[13:14], v[15:16], v[2:3], v[4:5]
	v_fma_f64 v[8:9], -v[11:12], v[2:3], v[8:9]
	v_fma_f64 v[17:18], v[15:16], v[2:3], -v[4:5]
	s_delay_alu instid0(VALU_DEP_4) | instskip(NEXT) | instid1(VALU_DEP_4)
	v_fma_f64 v[2:3], -v[15:16], v[0:1], v[6:7]
	v_fma_f64 v[4:5], v[11:12], v[0:1], v[13:14]
	s_delay_alu instid0(VALU_DEP_4) | instskip(NEXT) | instid1(VALU_DEP_4)
	v_fma_f64 v[6:7], v[15:16], v[0:1], v[8:9]
	v_fma_f64 v[8:9], v[11:12], v[0:1], v[17:18]
	ds_store_b128 v240, v[2:5] offset:15232
	ds_store_b128 v10, v[6:9] offset:16128
.LBB0_21:
	s_or_b32 exec_lo, exec_lo, s1
	s_waitcnt lgkmcnt(0)
	s_waitcnt_vscnt null, 0x0
	s_barrier
	buffer_gl0_inv
	s_barrier
	buffer_gl0_inv
	ds_load_b128 v[24:27], v240 offset:15680
	ds_load_b128 v[12:15], v240
	ds_load_b128 v[0:3], v240 offset:7840
	ds_load_b128 v[28:31], v240 offset:23520
	;; [unrolled: 1-line block ×10, first 2 shown]
	v_add_nc_u32_e32 v174, 56, v168
	v_add_nc_u32_e32 v175, 0x70, v168
	;; [unrolled: 1-line block ×4, first 2 shown]
	s_mov_b32 s4, exec_lo
	s_waitcnt lgkmcnt(10)
	v_add_f64 v[124:125], v[12:13], -v[24:25]
	v_add_f64 v[126:127], v[14:15], -v[26:27]
	s_waitcnt lgkmcnt(8)
	v_add_f64 v[128:129], v[0:1], -v[28:29]
	v_add_f64 v[130:131], v[2:3], -v[30:31]
	ds_load_b128 v[24:27], v240 offset:1792
	ds_load_b128 v[48:51], v240 offset:2688
	;; [unrolled: 1-line block ×21, first 2 shown]
	s_waitcnt lgkmcnt(27)
	v_add_f64 v[132:133], v[8:9], -v[16:17]
	v_add_f64 v[134:135], v[10:11], -v[18:19]
	ds_load_b128 v[16:19], v240 offset:14112
	s_waitcnt lgkmcnt(23)
	v_add_f64 v[40:41], v[32:33], -v[40:41]
	v_add_f64 v[42:43], v[34:35], -v[42:43]
	s_waitcnt lgkmcnt(22)
	v_add_f64 v[44:45], v[36:37], -v[44:45]
	v_add_f64 v[46:47], v[38:39], -v[46:47]
	;; [unrolled: 3-line block ×6, first 2 shown]
	v_add_f64 v[136:137], v[24:25], -v[52:53]
	v_add_f64 v[138:139], v[26:27], -v[54:55]
	;; [unrolled: 1-line block ×8, first 2 shown]
	s_waitcnt lgkmcnt(3)
	v_add_f64 v[154:155], v[104:105], -v[112:113]
	v_add_f64 v[156:157], v[106:107], -v[114:115]
	s_waitcnt lgkmcnt(2)
	v_add_f64 v[158:159], v[108:109], -v[116:117]
	v_add_f64 v[160:161], v[110:111], -v[118:119]
	v_fma_f64 v[80:81], v[12:13], 2.0, -v[124:125]
	v_fma_f64 v[146:147], v[14:15], 2.0, -v[126:127]
	ds_load_b128 v[12:15], v240 offset:15008
	v_fma_f64 v[54:55], v[0:1], 2.0, -v[128:129]
	v_fma_f64 v[66:67], v[2:3], 2.0, -v[130:131]
	s_waitcnt lgkmcnt(1)
	v_add_f64 v[98:99], v[16:17], -v[120:121]
	v_add_f64 v[100:101], v[18:19], -v[122:123]
	v_fma_f64 v[102:103], v[8:9], 2.0, -v[132:133]
	v_fma_f64 v[112:113], v[10:11], 2.0, -v[134:135]
	;; [unrolled: 1-line block ×6, first 2 shown]
	ds_load_b128 v[0:3], v240 offset:30688
	v_add_f64 v[32:33], v[132:133], -v[42:43]
	v_add_f64 v[34:35], v[134:135], v[40:41]
	v_fma_f64 v[164:165], v[74:75], 2.0, -v[148:149]
	s_waitcnt lgkmcnt(0)
	v_fma_f64 v[166:167], v[78:79], 2.0, -v[152:153]
	v_fma_f64 v[74:75], v[88:89], 2.0, -v[82:83]
	v_add_f64 v[78:79], v[152:153], v[82:83]
	v_fma_f64 v[88:89], v[92:93], 2.0, -v[86:87]
	s_barrier
	v_fma_f64 v[114:115], v[24:25], 2.0, -v[136:137]
	v_fma_f64 v[116:117], v[26:27], 2.0, -v[138:139]
	v_add_f64 v[24:25], v[124:125], -v[130:131]
	v_fma_f64 v[130:131], v[72:73], 2.0, -v[144:145]
	v_fma_f64 v[118:119], v[48:49], 2.0, -v[140:141]
	;; [unrolled: 1-line block ×7, first 2 shown]
	v_add_f64 v[26:27], v[126:127], v[128:129]
	v_fma_f64 v[128:129], v[76:77], 2.0, -v[150:151]
	v_fma_f64 v[76:77], v[90:91], 2.0, -v[84:85]
	;; [unrolled: 1-line block ×7, first 2 shown]
	v_add_f64 v[28:29], v[80:81], -v[54:55]
	v_add_f64 v[30:31], v[146:147], -v[66:67]
	v_fma_f64 v[16:17], v[16:17], 2.0, -v[98:99]
	v_fma_f64 v[18:19], v[18:19], 2.0, -v[100:101]
	v_add_f64 v[40:41], v[136:137], -v[46:47]
	v_add_f64 v[46:47], v[142:143], v[56:57]
	v_add_f64 v[36:37], v[102:103], -v[8:9]
	v_add_f64 v[38:39], v[112:113], -v[10:11]
	;; [unrolled: 1-line block ×3, first 2 shown]
	v_add_f64 v[42:43], v[138:139], v[44:45]
	v_add_f64 v[44:45], v[140:141], -v[52:53]
	v_add_f64 v[58:59], v[148:149], v[58:59]
	v_add_f64 v[8:9], v[4:5], -v[20:21]
	v_add_f64 v[10:11], v[6:7], -v[22:23]
	v_add_f64 v[86:87], v[156:157], v[86:87]
	v_fma_f64 v[92:93], v[132:133], 2.0, -v[32:33]
	v_fma_f64 v[94:95], v[134:135], 2.0, -v[34:35]
	buffer_gl0_inv
	v_lshl_add_u32 v132, v174, 6, 0
	v_lshl_add_u32 v133, v175, 6, 0
	v_add_f64 v[48:49], v[114:115], -v[68:69]
	v_add_f64 v[50:51], v[116:117], -v[70:71]
	v_fma_f64 v[60:61], v[124:125], 2.0, -v[24:25]
	v_add_f64 v[64:65], v[130:131], -v[72:73]
	v_add_f64 v[66:67], v[164:165], -v[62:63]
	;; [unrolled: 1-line block ×3, first 2 shown]
	v_lshl_add_u32 v122, v168, 6, 0
	v_add_f64 v[54:55], v[120:121], -v[162:163]
	v_fma_f64 v[62:63], v[126:127], 2.0, -v[26:27]
	v_add_f64 v[72:73], v[128:129], -v[74:75]
	v_add_f64 v[74:75], v[166:167], -v[76:77]
	;; [unrolled: 1-line block ×5, first 2 shown]
	v_add_f64 v[90:91], v[160:161], v[98:99]
	ds_store_b128 v122, v[28:31] offset:32
	ds_store_b128 v122, v[24:27] offset:48
	v_fma_f64 v[68:69], v[80:81], 2.0, -v[28:29]
	v_fma_f64 v[70:71], v[146:147], 2.0, -v[30:31]
	v_add_f64 v[80:81], v[179:180], -v[88:89]
	v_add_f64 v[20:21], v[183:184], -v[16:17]
	;; [unrolled: 1-line block ×6, first 2 shown]
	v_fma_f64 v[96:97], v[102:103], 2.0, -v[36:37]
	v_fma_f64 v[98:99], v[112:113], 2.0, -v[38:39]
	;; [unrolled: 1-line block ×6, first 2 shown]
	ds_store_b128 v122, v[68:71]
	ds_store_b128 v122, v[60:63] offset:16
	v_fma_f64 v[108:109], v[114:115], 2.0, -v[48:49]
	v_fma_f64 v[110:111], v[116:117], 2.0, -v[50:51]
	;; [unrolled: 1-line block ×12, first 2 shown]
	v_add_f64 v[0:1], v[8:9], -v[18:19]
	v_add_f64 v[2:3], v[10:11], v[16:17]
	v_fma_f64 v[60:61], v[150:151], 2.0, -v[76:77]
	v_fma_f64 v[62:63], v[152:153], 2.0, -v[78:79]
	;; [unrolled: 1-line block ×8, first 2 shown]
	ds_store_b128 v132, v[36:39] offset:32
	ds_store_b128 v132, v[32:35] offset:48
	ds_store_b128 v132, v[96:99]
	ds_store_b128 v132, v[92:95] offset:16
	v_lshl_add_u32 v32, v169, 6, 0
	v_lshl_add_u32 v33, v178, 6, 0
	v_add_nc_u32_e32 v34, 0x118, v168
	v_add_nc_u32_e32 v35, 0x150, v168
	;; [unrolled: 1-line block ×3, first 2 shown]
	ds_store_b128 v133, v[48:51] offset:32
	ds_store_b128 v133, v[40:43] offset:48
	ds_store_b128 v133, v[108:111]
	ds_store_b128 v133, v[100:103] offset:16
	ds_store_b128 v32, v[112:115]
	ds_store_b128 v32, v[104:107] offset:16
	ds_store_b128 v32, v[52:55] offset:32
	;; [unrolled: 1-line block ×3, first 2 shown]
	scratch_store_b32 off, v34, off offset:64 ; 4-byte Folded Spill
	v_lshl_add_u32 v32, v34, 6, 0
	ds_store_b128 v33, v[24:27]
	ds_store_b128 v33, v[116:119] offset:16
	ds_store_b128 v33, v[64:67] offset:32
	;; [unrolled: 1-line block ×3, first 2 shown]
	v_lshl_add_u32 v24, v35, 6, 0
	v_lshl_add_u32 v25, v36, 6, 0
	scratch_store_b32 off, v35, off offset:72 ; 4-byte Folded Spill
	ds_store_b128 v32, v[28:31]
	ds_store_b128 v32, v[60:63] offset:16
	ds_store_b128 v32, v[72:75] offset:32
	;; [unrolled: 1-line block ×3, first 2 shown]
	scratch_store_b32 off, v36, off offset:80 ; 4-byte Folded Spill
	ds_store_b128 v24, v[68:71]
	ds_store_b128 v24, v[120:123] offset:16
	ds_store_b128 v24, v[80:83] offset:32
	;; [unrolled: 1-line block ×3, first 2 shown]
	ds_store_b128 v25, v[124:127]
	ds_store_b128 v25, v[128:131] offset:16
	ds_store_b128 v25, v[20:23] offset:32
	;; [unrolled: 1-line block ×3, first 2 shown]
	v_cmpx_gt_u32_e32 42, v168
	s_cbranch_execz .LBB0_23
; %bb.22:
	v_fma_f64 v[20:21], v[6:7], 2.0, -v[10:11]
	v_fma_f64 v[6:7], v[14:15], 2.0, -v[18:19]
	;; [unrolled: 1-line block ×4, first 2 shown]
	scratch_load_b64 v[16:17], off, off offset:16 ; 8-byte Folded Reload
	v_fma_f64 v[10:11], v[10:11], 2.0, -v[2:3]
	v_fma_f64 v[8:9], v[8:9], 2.0, -v[0:1]
	v_add_f64 v[6:7], v[20:21], -v[6:7]
	v_add_f64 v[4:5], v[18:19], -v[4:5]
	s_delay_alu instid0(VALU_DEP_2) | instskip(NEXT) | instid1(VALU_DEP_2)
	v_fma_f64 v[14:15], v[20:21], 2.0, -v[6:7]
	v_fma_f64 v[12:13], v[18:19], 2.0, -v[4:5]
	s_waitcnt vmcnt(0)
	v_lshl_add_u32 v16, v16, 6, 0
	ds_store_b128 v16, v[12:15]
	ds_store_b128 v16, v[8:11] offset:16
	ds_store_b128 v16, v[4:7] offset:32
	ds_store_b128 v16, v[0:3] offset:48
.LBB0_23:
	s_or_b32 exec_lo, exec_lo, s4
	v_and_b32_e32 v182, 3, v168
	s_waitcnt lgkmcnt(0)
	s_waitcnt_vscnt null, 0x0
	s_barrier
	buffer_gl0_inv
	v_lshrrev_b32_e32 v179, 2, v169
	v_mul_u32_u24_e32 v4, 6, v182
	v_lshrrev_b32_e32 v180, 2, v178
	v_mov_b32_e32 v176, v168
	v_lshrrev_b32_e32 v168, 2, v168
	v_mul_u32_u24_e32 v239, 28, v179
	v_lshlrev_b32_e32 v4, 4, v4
	v_mul_u32_u24_e32 v255, 28, v180
	s_mov_b32 s24, 0xe976ee23
	v_mul_u32_u24_e32 v168, 28, v168
	s_mov_b32 s14, 0x429ad128
	s_clause 0x5
	global_load_b128 v[28:31], v4, s[8:9]
	global_load_b128 v[16:19], v4, s[8:9] offset:16
	global_load_b128 v[12:15], v4, s[8:9] offset:32
	;; [unrolled: 1-line block ×5, first 2 shown]
	ds_load_b128 v[64:67], v240 offset:5376
	ds_load_b128 v[52:55], v240 offset:6272
	;; [unrolled: 1-line block ×31, first 2 shown]
	ds_load_b128 v[132:135], v240
	ds_load_b128 v[136:139], v240 offset:896
	ds_load_b128 v[164:167], v240 offset:1792
	;; [unrolled: 1-line block ×3, first 2 shown]
	s_clause 0x3
	scratch_store_b32 off, v169, off offset:32
	scratch_store_b32 off, v178, off offset:40
	;; [unrolled: 1-line block ×4, first 2 shown]
	v_lshrrev_b32_e32 v174, 2, v174
	v_lshrrev_b32_e32 v175, 2, v175
	v_or_b32_e32 v168, v168, v182
	v_or_b32_e32 v169, v239, v182
	;; [unrolled: 1-line block ×3, first 2 shown]
	v_mul_u32_u24_e32 v174, 28, v174
	v_mul_u32_u24_e32 v175, 28, v175
	s_mov_b32 s25, 0xbfe11646
	s_mov_b32 s15, 0x3febfeb5
	;; [unrolled: 1-line block ×3, first 2 shown]
	v_or_b32_e32 v174, v174, v182
	v_or_b32_e32 v178, v175, v182
	s_mov_b32 s4, 0x36b3c0b5
	s_mov_b32 s21, 0x3fe948f6
	;; [unrolled: 1-line block ×11, first 2 shown]
	v_lshl_add_u32 v181, v174, 4, 0
	s_mov_b32 s26, 0xaaaaaaaa
	s_mov_b32 s27, 0xbff2aaaa
	;; [unrolled: 1-line block ×4, first 2 shown]
	v_lshl_add_u32 v168, v168, 4, 0
	s_waitcnt vmcnt(0) lgkmcnt(0)
	s_waitcnt_vscnt null, 0x0
	s_barrier
	buffer_gl0_inv
	v_mul_f64 v[183:184], v[70:71], v[30:31]
	v_mul_f64 v[185:186], v[68:69], v[30:31]
	;; [unrolled: 1-line block ×37, first 2 shown]
	v_fma_f64 v[68:69], v[68:69], v[28:29], -v[183:184]
	v_fma_f64 v[70:71], v[70:71], v[28:29], v[185:186]
	v_mul_f64 v[183:184], v[100:101], v[18:19]
	v_mul_f64 v[185:186], v[130:131], v[14:15]
	v_fma_f64 v[64:65], v[64:65], v[28:29], -v[187:188]
	v_fma_f64 v[66:67], v[66:67], v[28:29], v[189:190]
	v_mul_f64 v[187:188], v[128:129], v[14:15]
	v_mul_f64 v[189:190], v[34:35], v[18:19]
	;; [unrolled: 4-line block ×3, first 2 shown]
	v_fma_f64 v[60:61], v[60:61], v[28:29], -v[195:196]
	v_fma_f64 v[62:63], v[62:63], v[28:29], v[197:198]
	v_mul_f64 v[14:15], v[120:121], v[14:15]
	v_fma_f64 v[56:57], v[56:57], v[28:29], -v[199:200]
	v_fma_f64 v[28:29], v[58:59], v[28:29], v[30:31]
	v_mul_f64 v[58:59], v[142:143], v[22:23]
	v_mul_f64 v[195:196], v[74:75], v[26:27]
	v_fma_f64 v[50:51], v[50:51], v[16:17], v[203:204]
	v_mul_f64 v[199:200], v[72:73], v[26:27]
	v_fma_f64 v[42:43], v[42:43], v[12:13], v[207:208]
	v_mul_f64 v[203:204], v[152:153], v[26:27]
	v_mul_f64 v[207:208], v[150:151], v[26:27]
	;; [unrolled: 1-line block ×5, first 2 shown]
	v_fma_f64 v[48:49], v[48:49], v[16:17], -v[201:202]
	v_mul_f64 v[201:202], v[154:155], v[26:27]
	v_fma_f64 v[44:45], v[44:45], v[8:9], -v[209:210]
	v_fma_f64 v[46:47], v[46:47], v[8:9], v[211:212]
	v_mul_f64 v[209:210], v[146:147], v[22:23]
	v_fma_f64 v[116:117], v[116:117], v[20:21], -v[213:214]
	v_mul_f64 v[211:212], v[148:149], v[26:27]
	v_mul_f64 v[213:214], v[158:159], v[26:27]
	v_fma_f64 v[40:41], v[40:41], v[12:13], -v[205:206]
	v_mul_f64 v[205:206], v[82:83], v[10:11]
	v_mul_f64 v[26:27], v[156:157], v[26:27]
	;; [unrolled: 1-line block ×4, first 2 shown]
	v_fma_f64 v[118:119], v[118:119], v[20:21], v[215:216]
	v_fma_f64 v[88:89], v[88:89], v[24:25], -v[217:218]
	v_fma_f64 v[90:91], v[90:91], v[24:25], v[219:220]
	v_fma_f64 v[36:37], v[36:37], v[16:17], -v[221:222]
	v_fma_f64 v[38:39], v[38:39], v[16:17], v[223:224]
	v_fma_f64 v[84:85], v[84:85], v[12:13], -v[225:226]
	v_fma_f64 v[86:87], v[86:87], v[12:13], v[227:228]
	v_fma_f64 v[108:109], v[108:109], v[20:21], -v[233:234]
	v_fma_f64 v[110:111], v[110:111], v[20:21], v[235:236]
	v_fma_f64 v[112:113], v[112:113], v[16:17], -v[237:238]
	v_fma_f64 v[114:115], v[114:115], v[16:17], v[241:242]
	v_fma_f64 v[92:93], v[92:93], v[12:13], -v[243:244]
	v_fma_f64 v[94:95], v[94:95], v[12:13], v[245:246]
	v_fma_f64 v[126:127], v[126:127], v[8:9], v[249:250]
	;; [unrolled: 1-line block ×3, first 2 shown]
	v_fma_f64 v[100:101], v[100:101], v[16:17], -v[179:180]
	v_fma_f64 v[72:73], v[72:73], v[24:25], -v[195:196]
	v_fma_f64 v[102:103], v[102:103], v[16:17], v[183:184]
	v_fma_f64 v[74:75], v[74:75], v[24:25], v[199:200]
	v_fma_f64 v[128:129], v[128:129], v[12:13], -v[185:186]
	v_fma_f64 v[130:131], v[130:131], v[12:13], v[187:188]
	v_fma_f64 v[32:33], v[32:33], v[16:17], -v[189:190]
	v_fma_f64 v[16:17], v[34:35], v[16:17], v[18:19]
	v_fma_f64 v[18:19], v[154:155], v[24:25], v[203:204]
	v_fma_f64 v[34:35], v[120:121], v[12:13], -v[191:192]
	v_fma_f64 v[12:13], v[122:123], v[12:13], v[14:15]
	v_fma_f64 v[14:15], v[148:149], v[24:25], -v[207:208]
	v_fma_f64 v[58:59], v[140:141], v[20:21], -v[58:59]
	v_fma_f64 v[76:77], v[76:77], v[8:9], -v[229:230]
	v_fma_f64 v[78:79], v[78:79], v[8:9], v[231:232]
	v_fma_f64 v[96:97], v[96:97], v[20:21], -v[251:252]
	v_fma_f64 v[152:153], v[152:153], v[24:25], -v[201:202]
	;; [unrolled: 1-line block ×3, first 2 shown]
	v_fma_f64 v[120:121], v[150:151], v[24:25], v[211:212]
	v_fma_f64 v[122:123], v[142:143], v[20:21], v[197:198]
	;; [unrolled: 1-line block ×3, first 2 shown]
	v_fma_f64 v[106:107], v[156:157], v[24:25], -v[213:214]
	v_fma_f64 v[140:141], v[144:145], v[20:21], -v[209:210]
	;; [unrolled: 1-line block ×4, first 2 shown]
	v_fma_f64 v[24:25], v[158:159], v[24:25], v[26:27]
	v_fma_f64 v[20:21], v[146:147], v[20:21], v[22:23]
	;; [unrolled: 1-line block ×3, first 2 shown]
	v_add_f64 v[10:11], v[68:69], v[88:89]
	v_add_f64 v[22:23], v[70:71], v[90:91]
	;; [unrolled: 1-line block ×7, first 2 shown]
	v_add_f64 v[68:69], v[68:69], -v[88:89]
	v_add_f64 v[190:191], v[94:95], v[126:127]
	v_add_f64 v[188:189], v[114:115], v[98:99]
	v_add_f64 v[48:49], v[48:49], -v[116:117]
	v_add_f64 v[146:147], v[64:65], v[72:73]
	v_add_f64 v[40:41], v[44:45], -v[40:41]
	v_add_f64 v[154:155], v[66:67], v[74:75]
	v_add_f64 v[144:145], v[42:43], v[46:47]
	v_add_f64 v[70:71], v[70:71], -v[90:91]
	v_add_f64 v[50:51], v[50:51], -v[118:119]
	;; [unrolled: 1-line block ×3, first 2 shown]
	v_add_f64 v[186:187], v[54:55], v[18:19]
	v_add_f64 v[44:45], v[64:65], -v[72:73]
	v_add_f64 v[36:37], v[36:37], -v[108:109]
	v_add_f64 v[192:193], v[60:61], v[14:15]
	v_add_f64 v[194:195], v[100:101], v[58:59]
	;; [unrolled: 1-line block ×12, first 2 shown]
	v_add_f64 v[64:65], v[76:77], -v[84:85]
	v_add_f64 v[184:185], v[92:93], v[124:125]
	v_add_f64 v[208:209], v[34:35], v[80:81]
	;; [unrolled: 1-line block ×5, first 2 shown]
	v_add_f64 v[46:47], v[66:67], -v[74:75]
	v_add_f64 v[38:39], v[38:39], -v[110:111]
	v_add_f64 v[66:67], v[78:79], -v[86:87]
	v_add_f64 v[18:19], v[54:55], -v[18:19]
	v_add_f64 v[54:55], v[112:113], -v[96:97]
	v_add_f64 v[74:75], v[124:125], -v[92:93]
	v_add_f64 v[52:53], v[52:53], -v[152:153]
	v_add_f64 v[72:73], v[114:115], -v[98:99]
	v_add_f64 v[76:77], v[126:127], -v[94:95]
	v_add_f64 v[14:15], v[60:61], -v[14:15]
	v_add_f64 v[60:61], v[62:63], -v[120:121]
	v_add_f64 v[58:59], v[100:101], -v[58:59]
	v_add_f64 v[62:63], v[102:103], -v[122:123]
	v_add_f64 v[78:79], v[104:105], -v[128:129]
	v_add_f64 v[30:31], v[30:31], -v[130:131]
	v_add_f64 v[24:25], v[28:29], -v[24:25]
	v_add_f64 v[28:29], v[32:33], -v[140:141]
	v_add_f64 v[16:17], v[16:17], -v[20:21]
	v_add_f64 v[20:21], v[80:81], -v[34:35]
	v_add_f64 v[8:9], v[8:9], -v[12:13]
	v_add_f64 v[12:13], v[26:27], v[10:11]
	v_add_f64 v[32:33], v[82:83], v[22:23]
	;; [unrolled: 1-line block ×6, first 2 shown]
	v_add_f64 v[118:119], v[188:189], -v[186:187]
	v_add_f64 v[120:121], v[186:187], -v[190:191]
	;; [unrolled: 1-line block ×3, first 2 shown]
	v_add_f64 v[186:187], v[40:41], v[48:49]
	v_add_f64 v[188:189], v[40:41], -v[48:49]
	v_add_f64 v[48:49], v[48:49], -v[68:69]
	v_add_f64 v[84:85], v[182:183], v[179:180]
	v_add_f64 v[90:91], v[200:201], v[198:199]
	;; [unrolled: 1-line block ×3, first 2 shown]
	v_add_f64 v[96:97], v[26:27], -v[10:11]
	v_add_f64 v[98:99], v[142:143], -v[26:27]
	;; [unrolled: 1-line block ×12, first 2 shown]
	v_add_f64 v[192:193], v[42:43], v[50:51]
	v_add_f64 v[194:195], v[42:43], -v[50:51]
	v_add_f64 v[50:51], v[50:51], -v[70:71]
	v_add_f64 v[198:199], v[64:65], v[36:37]
	v_add_f64 v[200:201], v[64:65], -v[36:37]
	v_add_f64 v[56:57], v[56:57], -v[106:107]
	;; [unrolled: 3-line block ×3, first 2 shown]
	v_add_f64 v[112:113], v[182:183], -v[179:180]
	v_add_f64 v[114:115], v[179:180], -v[184:185]
	;; [unrolled: 1-line block ×8, first 2 shown]
	v_add_f64 v[210:211], v[74:75], v[54:55]
	v_add_f64 v[116:117], v[184:185], -v[182:183]
	v_add_f64 v[152:153], v[204:205], -v[208:209]
	;; [unrolled: 1-line block ×3, first 2 shown]
	v_add_f64 v[204:205], v[66:67], v[38:39]
	v_add_f64 v[38:39], v[38:39], -v[46:47]
	v_add_f64 v[212:213], v[76:77], v[72:73]
	v_add_f64 v[216:217], v[78:79], v[58:59]
	;; [unrolled: 1-line block ×4, first 2 shown]
	v_add_f64 v[224:225], v[74:75], -v[54:55]
	v_add_f64 v[54:55], v[54:55], -v[52:53]
	v_add_f64 v[10:11], v[10:11], -v[142:143]
	v_add_f64 v[100:101], v[82:83], -v[22:23]
	v_add_f64 v[22:23], v[22:23], -v[144:145]
	v_add_f64 v[142:143], v[142:143], v[12:13]
	v_add_f64 v[32:33], v[144:145], v[32:33]
	v_add_f64 v[82:83], v[144:145], -v[82:83]
	v_add_f64 v[228:229], v[78:79], -v[58:59]
	v_add_f64 v[222:223], v[8:9], v[16:17]
	v_add_f64 v[226:227], v[76:77], -v[72:73]
	v_add_f64 v[40:41], v[68:69], -v[40:41]
	;; [unrolled: 1-line block ×3, first 2 shown]
	v_add_f64 v[34:35], v[150:151], v[34:35]
	v_add_f64 v[80:81], v[158:159], v[80:81]
	;; [unrolled: 1-line block ×3, first 2 shown]
	v_mul_f64 v[188:189], v[188:189], s[24:25]
	v_mul_f64 v[196:197], v[48:49], s[14:15]
	v_add_f64 v[58:59], v[58:59], -v[14:15]
	v_add_f64 v[42:43], v[70:71], -v[42:43]
	;; [unrolled: 1-line block ×3, first 2 shown]
	v_add_f64 v[84:85], v[184:185], v[84:85]
	v_add_f64 v[86:87], v[190:191], v[86:87]
	;; [unrolled: 1-line block ×4, first 2 shown]
	v_mul_f64 v[194:195], v[194:195], s[24:25]
	v_mul_f64 v[198:199], v[50:51], s[14:15]
	;; [unrolled: 1-line block ×5, first 2 shown]
	v_add_f64 v[74:75], v[52:53], -v[74:75]
	v_add_f64 v[230:231], v[30:31], -v[62:63]
	v_add_f64 v[232:233], v[20:21], -v[28:29]
	v_add_f64 v[234:235], v[56:57], -v[20:21]
	v_add_f64 v[20:21], v[8:9], -v[16:17]
	v_add_f64 v[90:91], v[202:203], v[90:91]
	v_add_f64 v[52:53], v[210:211], v[52:53]
	v_mul_f64 v[210:211], v[36:37], s[14:15]
	v_mul_f64 v[206:207], v[206:207], s[24:25]
	v_add_f64 v[62:63], v[62:63], -v[60:61]
	v_add_f64 v[66:67], v[46:47], -v[66:67]
	;; [unrolled: 1-line block ×4, first 2 shown]
	v_add_f64 v[94:95], v[214:215], v[94:95]
	v_add_f64 v[144:145], v[212:213], v[18:19]
	;; [unrolled: 1-line block ×5, first 2 shown]
	v_mul_f64 v[212:213], v[38:39], s[14:15]
	v_mul_f64 v[114:115], v[114:115], s[20:21]
	;; [unrolled: 1-line block ×7, first 2 shown]
	v_add_f64 v[241:242], v[16:17], -v[24:25]
	v_add_f64 v[236:237], v[24:25], -v[8:9]
	v_mul_f64 v[184:185], v[10:11], s[20:21]
	v_mul_f64 v[190:191], v[22:23], s[20:21]
	v_add_f64 v[8:9], v[132:133], v[142:143]
	v_add_f64 v[10:11], v[134:135], v[32:33]
	;; [unrolled: 1-line block ×4, first 2 shown]
	v_mul_f64 v[186:187], v[98:99], s[4:5]
	v_mul_f64 v[192:193], v[82:83], s[4:5]
	;; [unrolled: 1-line block ×3, first 2 shown]
	v_add_f64 v[158:159], v[222:223], v[24:25]
	v_mul_f64 v[222:223], v[226:227], s[24:25]
	v_add_f64 v[76:77], v[18:19], -v[76:77]
	v_add_f64 v[78:79], v[14:15], -v[78:79]
	v_mul_f64 v[202:203], v[26:27], s[20:21]
	v_mul_f64 v[224:225], v[72:73], s[14:15]
	v_add_f64 v[12:13], v[136:137], v[34:35]
	v_add_f64 v[14:15], v[138:139], v[80:81]
	v_fma_f64 v[48:49], v[48:49], s[14:15], -v[188:189]
	v_fma_f64 v[132:133], v[40:41], s[16:17], v[188:189]
	v_fma_f64 v[40:41], v[40:41], s[18:19], -v[196:197]
	v_add_f64 v[46:47], v[204:205], v[46:47]
	v_mul_f64 v[204:205], v[104:105], s[4:5]
	v_mul_f64 v[126:127], v[126:127], s[20:21]
	;; [unrolled: 1-line block ×6, first 2 shown]
	v_add_f64 v[16:17], v[164:165], v[84:85]
	v_add_f64 v[18:19], v[166:167], v[86:87]
	v_fma_f64 v[50:51], v[50:51], s[14:15], -v[194:195]
	v_fma_f64 v[134:135], v[42:43], s[16:17], v[194:195]
	v_fma_f64 v[42:43], v[42:43], s[18:19], -v[198:199]
	v_fma_f64 v[110:111], v[110:111], s[4:5], v[108:109]
	v_fma_f64 v[138:139], v[106:107], s[10:11], -v[208:209]
	v_fma_f64 v[106:107], v[106:107], s[12:13], -v[108:109]
	;; [unrolled: 1-line block ×3, first 2 shown]
	v_fma_f64 v[108:109], v[64:65], s[16:17], v[200:201]
	v_mul_f64 v[230:231], v[230:231], s[24:25]
	v_mul_f64 v[253:254], v[20:21], s[24:25]
	;; [unrolled: 1-line block ×4, first 2 shown]
	v_add_f64 v[20:21], v[160:161], v[88:89]
	v_add_f64 v[22:23], v[162:163], v[90:91]
	v_fma_f64 v[64:65], v[64:65], s[18:19], -v[210:211]
	v_fma_f64 v[38:39], v[38:39], s[14:15], -v[206:207]
	v_mul_f64 v[247:248], v[62:63], s[14:15]
	v_mul_f64 v[152:153], v[152:153], s[20:21]
	;; [unrolled: 1-line block ×4, first 2 shown]
	v_add_f64 v[24:25], v[4:5], v[92:93]
	v_add_f64 v[26:27], v[6:7], v[94:95]
	v_fma_f64 v[160:161], v[66:67], s[16:17], v[206:207]
	v_fma_f64 v[66:67], v[66:67], s[18:19], -v[212:213]
	v_fma_f64 v[116:117], v[116:117], s[4:5], v[114:115]
	v_fma_f64 v[162:163], v[112:113], s[10:11], -v[214:215]
	v_fma_f64 v[112:113], v[112:113], s[12:13], -v[114:115]
	v_fma_f64 v[114:115], v[122:123], s[4:5], v[120:121]
	v_fma_f64 v[122:123], v[118:119], s[10:11], -v[216:217]
	v_fma_f64 v[118:119], v[118:119], s[12:13], -v[120:121]
	v_fma_f64 v[54:55], v[54:55], s[14:15], -v[218:219]
	v_fma_f64 v[120:121], v[74:75], s[16:17], v[218:219]
	v_fma_f64 v[74:75], v[74:75], s[18:19], -v[220:221]
	v_mul_f64 v[251:252], v[28:29], s[14:15]
	v_mul_f64 v[238:239], v[241:242], s[14:15]
	v_fma_f64 v[4:5], v[98:99], s[4:5], v[184:185]
	v_fma_f64 v[82:83], v[82:83], s[4:5], v[190:191]
	;; [unrolled: 1-line block ×4, first 2 shown]
	v_fma_f64 v[6:7], v[96:97], s[10:11], -v[186:187]
	v_fma_f64 v[96:97], v[96:97], s[12:13], -v[184:185]
	;; [unrolled: 1-line block ×6, first 2 shown]
	v_fma_f64 v[104:105], v[104:105], s[4:5], v[202:203]
	v_fma_f64 v[164:165], v[76:77], s[16:17], v[222:223]
	v_fma_f64 v[76:77], v[76:77], s[18:19], -v[224:225]
	v_fma_f64 v[132:133], v[68:69], s[22:23], v[132:133]
	v_fma_f64 v[48:49], v[68:69], s[22:23], v[48:49]
	;; [unrolled: 1-line block ×5, first 2 shown]
	v_fma_f64 v[136:137], v[102:103], s[10:11], -v[204:205]
	v_fma_f64 v[102:103], v[102:103], s[12:13], -v[202:203]
	v_fma_f64 v[128:129], v[128:129], s[4:5], v[126:127]
	v_fma_f64 v[166:167], v[124:125], s[10:11], -v[226:227]
	v_fma_f64 v[124:125], v[124:125], s[12:13], -v[126:127]
	v_fma_f64 v[126:127], v[146:147], s[4:5], v[140:141]
	;; [unrolled: 3-line block ×3, first 2 shown]
	v_fma_f64 v[78:79], v[78:79], s[18:19], -v[245:246]
	v_fma_f64 v[134:135], v[70:71], s[22:23], v[134:135]
	v_fma_f64 v[50:51], v[70:71], s[22:23], v[50:51]
	;; [unrolled: 1-line block ×9, first 2 shown]
	v_fma_f64 v[174:175], v[156:157], s[10:11], -v[174:175]
	v_fma_f64 v[156:157], v[156:157], s[12:13], -v[179:180]
	v_fma_f64 v[179:180], v[44:45], s[22:23], v[64:65]
	v_fma_f64 v[64:65], v[46:47], s[22:23], v[38:39]
	;; [unrolled: 1-line block ×4, first 2 shown]
	v_fma_f64 v[30:31], v[30:31], s[18:19], -v[247:248]
	v_fma_f64 v[62:63], v[62:63], s[14:15], -v[230:231]
	v_fma_f64 v[154:155], v[154:155], s[4:5], v[152:153]
	v_fma_f64 v[186:187], v[148:149], s[10:11], -v[249:250]
	v_fma_f64 v[148:149], v[148:149], s[12:13], -v[152:153]
	v_fma_f64 v[152:153], v[234:235], s[16:17], v[232:233]
	v_fma_f64 v[192:193], v[236:237], s[16:17], v[253:254]
	;; [unrolled: 1-line block ×9, first 2 shown]
	v_fma_f64 v[188:189], v[234:235], s[18:19], -v[251:252]
	v_fma_f64 v[190:191], v[241:242], s[14:15], -v[253:254]
	v_fma_f64 v[194:195], v[236:237], s[18:19], -v[238:239]
	v_fma_f64 v[28:29], v[28:29], s[14:15], -v[232:233]
	v_add_f64 v[4:5], v[4:5], v[142:143]
	v_add_f64 v[54:55], v[82:83], v[32:33]
	v_fma_f64 v[200:201], v[150:151], s[22:23], v[58:59]
	v_add_f64 v[58:59], v[96:97], v[142:143]
	v_add_f64 v[66:67], v[100:101], v[32:33]
	v_fma_f64 v[88:89], v[144:145], s[22:23], v[72:73]
	;; [unrolled: 3-line block ×3, first 2 shown]
	v_fma_f64 v[144:145], v[144:145], s[22:23], v[76:77]
	v_add_f64 v[74:75], v[104:105], v[34:35]
	v_add_f64 v[76:77], v[110:111], v[40:41]
	v_fma_f64 v[140:141], v[150:151], s[22:23], v[140:141]
	v_fma_f64 v[150:151], v[150:151], s[22:23], v[78:79]
	v_add_f64 v[78:79], v[102:103], v[34:35]
	v_add_f64 v[82:83], v[106:107], v[40:41]
	;; [unrolled: 1-line block ×10, first 2 shown]
	v_fma_f64 v[184:185], v[60:61], s[22:23], v[184:185]
	v_add_f64 v[122:123], v[128:129], v[38:39]
	v_add_f64 v[126:127], v[126:127], v[44:45]
	v_fma_f64 v[202:203], v[60:61], s[22:23], v[30:31]
	v_add_f64 v[116:117], v[124:125], v[38:39]
	v_add_f64 v[118:119], v[130:131], v[44:45]
	;; [unrolled: 3-line block ×3, first 2 shown]
	v_fma_f64 v[152:153], v[56:57], s[22:23], v[152:153]
	v_fma_f64 v[192:193], v[158:159], s[22:23], v[192:193]
	v_add_f64 v[146:147], v[154:155], v[46:47]
	v_add_f64 v[154:155], v[182:183], v[52:53]
	v_fma_f64 v[188:189], v[56:57], s[22:23], v[188:189]
	v_fma_f64 v[136:137], v[158:159], s[22:23], v[190:191]
	;; [unrolled: 1-line block ×3, first 2 shown]
	v_add_f64 v[148:149], v[148:149], v[46:47]
	v_add_f64 v[156:157], v[156:157], v[52:53]
	v_fma_f64 v[204:205], v[56:57], s[22:23], v[28:29]
	v_add_f64 v[138:139], v[186:187], v[46:47]
	v_add_f64 v[162:163], v[174:175], v[52:53]
	;; [unrolled: 1-line block ×3, first 2 shown]
	v_add_f64 v[30:31], v[54:55], -v[132:133]
	v_add_f64 v[32:33], v[70:71], v[58:59]
	v_add_f64 v[34:35], v[66:67], -v[68:69]
	v_add_f64 v[36:37], v[6:7], -v[50:51]
	v_add_f64 v[38:39], v[48:49], v[72:73]
	v_add_f64 v[40:41], v[50:51], v[6:7]
	v_add_f64 v[42:43], v[72:73], -v[48:49]
	v_add_f64 v[44:45], v[58:59], -v[70:71]
	v_add_f64 v[46:47], v[68:69], v[66:67]
	v_add_f64 v[48:49], v[4:5], -v[134:135]
	v_add_f64 v[50:51], v[132:133], v[54:55]
	v_add_f64 v[52:53], v[160:161], v[74:75]
	v_add_f64 v[54:55], v[76:77], -v[80:81]
	v_add_f64 v[56:57], v[84:85], v[78:79]
	v_add_f64 v[58:59], v[82:83], -v[179:180]
	v_add_f64 v[60:61], v[86:87], -v[64:65]
	v_add_f64 v[62:63], v[108:109], v[90:91]
	v_add_f64 v[64:65], v[64:65], v[86:87]
	v_add_f64 v[66:67], v[90:91], -v[108:109]
	v_add_f64 v[68:69], v[78:79], -v[84:85]
	v_add_f64 v[70:71], v[179:180], v[82:83]
	v_add_f64 v[72:73], v[74:75], -v[160:161]
	v_add_f64 v[74:75], v[80:81], v[76:77]
	v_add_f64 v[76:77], v[164:165], v[96:97]
	;; [unrolled: 12-line block ×4, first 2 shown]
	v_add_f64 v[126:127], v[154:155], -v[152:153]
	v_add_f64 v[128:129], v[158:159], v[148:149]
	v_add_f64 v[130:131], v[156:157], -v[188:189]
	v_add_f64 v[132:133], v[138:139], -v[136:137]
	v_add_f64 v[134:135], v[204:205], v[162:163]
	v_add_f64 v[136:137], v[136:137], v[138:139]
	v_add_f64 v[138:139], v[162:163], -v[204:205]
	v_add_f64 v[140:141], v[148:149], -v[158:159]
	v_add_f64 v[142:143], v[188:189], v[156:157]
	v_add_f64 v[4:5], v[146:147], -v[192:193]
	v_add_f64 v[6:7], v[152:153], v[154:155]
	v_lshl_add_u32 v144, v178, 4, 0
	v_lshl_add_u32 v145, v169, 4, 0
	;; [unrolled: 1-line block ×3, first 2 shown]
	ds_store_b128 v168, v[8:11]
	ds_store_b128 v168, v[28:31] offset:64
	ds_store_b128 v168, v[32:35] offset:128
	ds_store_b128 v168, v[36:39] offset:192
	ds_store_b128 v168, v[40:43] offset:256
	ds_store_b128 v168, v[44:47] offset:320
	ds_store_b128 v168, v[48:51] offset:384
	ds_store_b128 v181, v[12:15]
	ds_store_b128 v181, v[52:55] offset:64
	ds_store_b128 v181, v[56:59] offset:128
	ds_store_b128 v181, v[60:63] offset:192
	ds_store_b128 v181, v[64:67] offset:256
	ds_store_b128 v181, v[68:71] offset:320
	ds_store_b128 v181, v[72:75] offset:384
	;; [unrolled: 7-line block ×5, first 2 shown]
	s_waitcnt lgkmcnt(0)
	s_barrier
	buffer_gl0_inv
	ds_load_b128 v[72:75], v240
	ds_load_b128 v[68:71], v240 offset:896
	ds_load_b128 v[136:139], v240 offset:16576
	;; [unrolled: 1-line block ×33, first 2 shown]
	s_and_saveexec_b32 s1, s0
	s_cbranch_execz .LBB0_25
; %bb.24:
	ds_load_b128 v[4:7], v240 offset:15232
	ds_load_b128 v[0:3], v240 offset:30912
.LBB0_25:
	s_or_b32 exec_lo, exec_lo, s1
	scratch_load_b32 v195, off, off offset:56 ; 4-byte Folded Reload
	v_dual_mov_b32 v191, v176 :: v_dual_mov_b32 v242, 0
	s_delay_alu instid0(VALU_DEP_1) | instskip(SKIP_1) | instid1(VALU_DEP_2)
	v_subrev_nc_u32_e32 v144, 28, v191
	v_lshlrev_b32_e32 v238, 2, v191
	v_cndmask_b32_e64 v241, v144, v191, s0
	s_delay_alu instid0(VALU_DEP_1) | instskip(NEXT) | instid1(VALU_DEP_1)
	v_lshlrev_b64 v[144:145], 4, v[241:242]
	v_add_co_u32 v144, s1, s8, v144
	s_delay_alu instid0(VALU_DEP_1) | instskip(SKIP_3) | instid1(VALU_DEP_1)
	v_add_co_ci_u32_e64 v145, s1, s9, v145, s1
	v_cmp_lt_u32_e64 s1, 27, v191
	s_waitcnt vmcnt(0)
	v_lshrrev_b16 v146, 2, v195
	v_and_b32_e32 v146, 63, v146
	s_delay_alu instid0(VALU_DEP_1) | instskip(NEXT) | instid1(VALU_DEP_1)
	v_mul_lo_u16 v146, v146, 37
	v_lshrrev_b16 v146, 8, v146
	s_delay_alu instid0(VALU_DEP_1) | instskip(NEXT) | instid1(VALU_DEP_1)
	v_mul_lo_u16 v147, v146, 28
	v_sub_nc_u16 v147, v195, v147
	s_delay_alu instid0(VALU_DEP_1) | instskip(NEXT) | instid1(VALU_DEP_1)
	v_and_b32_e32 v147, 0xff, v147
	v_lshlrev_b32_e32 v147, 4, v147
	s_clause 0x1
	global_load_b128 v[148:151], v[144:145], off offset:384
	global_load_b128 v[152:155], v147, s[8:9] offset:384
	s_clause 0x1
	scratch_load_b32 v194, off, off offset:48
	scratch_load_b32 v192, off, off offset:32
	s_waitcnt vmcnt(3) lgkmcnt(3)
	v_mul_f64 v[144:145], v[142:143], v[150:151]
	s_delay_alu instid0(VALU_DEP_1) | instskip(SKIP_1) | instid1(VALU_DEP_1)
	v_fma_f64 v[144:145], v[140:141], v[148:149], -v[144:145]
	v_mul_f64 v[140:141], v[140:141], v[150:151]
	v_fma_f64 v[142:143], v[142:143], v[148:149], v[140:141]
	s_waitcnt vmcnt(2)
	v_mul_f64 v[140:141], v[138:139], v[154:155]
	s_delay_alu instid0(VALU_DEP_1) | instskip(SKIP_1) | instid1(VALU_DEP_1)
	v_fma_f64 v[140:141], v[136:137], v[152:153], -v[140:141]
	v_mul_f64 v[136:137], v[136:137], v[154:155]
	v_fma_f64 v[136:137], v[138:139], v[152:153], v[136:137]
	s_waitcnt vmcnt(1)
	v_lshrrev_b16 v138, 2, v194
	s_waitcnt vmcnt(0)
	v_lshrrev_b16 v139, 2, v192
	s_delay_alu instid0(VALU_DEP_2) | instskip(NEXT) | instid1(VALU_DEP_2)
	v_and_b32_e32 v138, 63, v138
	v_and_b32_e32 v139, 63, v139
	s_delay_alu instid0(VALU_DEP_2) | instskip(NEXT) | instid1(VALU_DEP_2)
	v_mul_lo_u16 v138, v138, 37
	v_mul_lo_u16 v139, v139, 37
	s_delay_alu instid0(VALU_DEP_2) | instskip(NEXT) | instid1(VALU_DEP_2)
	v_lshrrev_b16 v150, 8, v138
	v_lshrrev_b16 v148, 8, v139
	s_delay_alu instid0(VALU_DEP_2) | instskip(NEXT) | instid1(VALU_DEP_2)
	v_mul_lo_u16 v138, v150, 28
	v_mul_lo_u16 v139, v148, 28
	s_delay_alu instid0(VALU_DEP_2) | instskip(NEXT) | instid1(VALU_DEP_2)
	v_sub_nc_u16 v138, v194, v138
	v_sub_nc_u16 v139, v192, v139
	s_delay_alu instid0(VALU_DEP_2) | instskip(NEXT) | instid1(VALU_DEP_2)
	v_and_b32_e32 v138, 0xff, v138
	v_and_b32_e32 v139, 0xff, v139
	s_delay_alu instid0(VALU_DEP_2) | instskip(NEXT) | instid1(VALU_DEP_2)
	v_lshlrev_b32_e32 v151, 4, v138
	v_lshlrev_b32_e32 v149, 4, v139
	s_clause 0x1
	global_load_b128 v[152:155], v151, s[8:9] offset:384
	global_load_b128 v[156:159], v149, s[8:9] offset:384
	s_clause 0x1
	scratch_load_b32 v193, off, off offset:40
	scratch_load_b32 v196, off, off offset:64
	s_waitcnt vmcnt(3)
	v_mul_f64 v[138:139], v[134:135], v[154:155]
	s_delay_alu instid0(VALU_DEP_1) | instskip(SKIP_1) | instid1(VALU_DEP_1)
	v_fma_f64 v[138:139], v[132:133], v[152:153], -v[138:139]
	v_mul_f64 v[132:133], v[132:133], v[154:155]
	v_fma_f64 v[134:135], v[134:135], v[152:153], v[132:133]
	s_waitcnt vmcnt(2)
	v_mul_f64 v[132:133], v[130:131], v[158:159]
	s_delay_alu instid0(VALU_DEP_1) | instskip(SKIP_1) | instid1(VALU_DEP_1)
	v_fma_f64 v[132:133], v[128:129], v[156:157], -v[132:133]
	v_mul_f64 v[128:129], v[128:129], v[158:159]
	v_fma_f64 v[128:129], v[130:131], v[156:157], v[128:129]
	s_waitcnt vmcnt(1)
	v_lshrrev_b16 v130, 2, v193
	s_waitcnt vmcnt(0)
	v_lshrrev_b16 v131, 2, v196
	s_delay_alu instid0(VALU_DEP_2) | instskip(NEXT) | instid1(VALU_DEP_2)
	v_and_b32_e32 v130, 0xffff, v130
	v_and_b32_e32 v131, 0xffff, v131
	s_delay_alu instid0(VALU_DEP_2) | instskip(NEXT) | instid1(VALU_DEP_2)
	v_mul_u32_u24_e32 v130, 0x4925, v130
	v_mul_u32_u24_e32 v131, 0x4925, v131
	s_delay_alu instid0(VALU_DEP_2) | instskip(NEXT) | instid1(VALU_DEP_2)
	v_lshrrev_b32_e32 v153, 17, v130
	v_lshrrev_b32_e32 v152, 17, v131
	s_delay_alu instid0(VALU_DEP_2) | instskip(NEXT) | instid1(VALU_DEP_2)
	v_mul_lo_u16 v130, v153, 28
	v_mul_lo_u16 v131, v152, 28
	s_delay_alu instid0(VALU_DEP_2) | instskip(NEXT) | instid1(VALU_DEP_2)
	v_sub_nc_u16 v130, v193, v130
	v_sub_nc_u16 v131, v196, v131
	s_delay_alu instid0(VALU_DEP_2) | instskip(NEXT) | instid1(VALU_DEP_2)
	v_and_b32_e32 v130, 0xffff, v130
	v_and_b32_e32 v131, 0xffff, v131
	s_delay_alu instid0(VALU_DEP_2) | instskip(NEXT) | instid1(VALU_DEP_2)
	v_lshlrev_b32_e32 v155, 4, v130
	v_lshlrev_b32_e32 v154, 4, v131
	s_clause 0x1
	global_load_b128 v[156:159], v155, s[8:9] offset:384
	global_load_b128 v[182:185], v154, s[8:9] offset:384
	scratch_load_b32 v197, off, off offset:72 ; 4-byte Folded Reload
	s_waitcnt vmcnt(2)
	v_mul_f64 v[130:131], v[126:127], v[158:159]
	s_delay_alu instid0(VALU_DEP_1) | instskip(SKIP_1) | instid1(VALU_DEP_1)
	v_fma_f64 v[130:131], v[124:125], v[156:157], -v[130:131]
	v_mul_f64 v[124:125], v[124:125], v[158:159]
	v_fma_f64 v[124:125], v[126:127], v[156:157], v[124:125]
	s_waitcnt vmcnt(1)
	v_mul_f64 v[126:127], v[122:123], v[184:185]
	s_delay_alu instid0(VALU_DEP_1) | instskip(SKIP_1) | instid1(VALU_DEP_1)
	v_fma_f64 v[126:127], v[120:121], v[182:183], -v[126:127]
	v_mul_f64 v[120:121], v[120:121], v[184:185]
	v_fma_f64 v[120:121], v[122:123], v[182:183], v[120:121]
	scratch_load_b32 v123, off, off offset:80 ; 4-byte Folded Reload
	s_waitcnt vmcnt(0)
	v_lshrrev_b16 v122, 2, v123
	s_delay_alu instid0(VALU_DEP_1) | instskip(NEXT) | instid1(VALU_DEP_1)
	v_and_b32_e32 v122, 0xffff, v122
	v_mul_u32_u24_e32 v122, 0x4925, v122
	s_delay_alu instid0(VALU_DEP_1) | instskip(NEXT) | instid1(VALU_DEP_1)
	v_lshrrev_b32_e32 v156, 17, v122
	v_mul_lo_u16 v122, v156, 28
	s_delay_alu instid0(VALU_DEP_1) | instskip(SKIP_1) | instid1(VALU_DEP_2)
	v_sub_nc_u16 v122, v123, v122
	v_lshrrev_b16 v123, 2, v197
	v_and_b32_e32 v122, 0xffff, v122
	s_delay_alu instid0(VALU_DEP_2) | instskip(NEXT) | instid1(VALU_DEP_2)
	v_and_b32_e32 v123, 0xffff, v123
	v_lshlrev_b32_e32 v157, 4, v122
	s_delay_alu instid0(VALU_DEP_2) | instskip(NEXT) | instid1(VALU_DEP_1)
	v_mul_u32_u24_e32 v123, 0x4925, v123
	v_lshrrev_b32_e32 v158, 17, v123
	s_delay_alu instid0(VALU_DEP_1) | instskip(NEXT) | instid1(VALU_DEP_1)
	v_mul_lo_u16 v123, v158, 28
	v_sub_nc_u16 v123, v197, v123
	s_delay_alu instid0(VALU_DEP_1) | instskip(NEXT) | instid1(VALU_DEP_1)
	v_and_b32_e32 v123, 0xffff, v123
	v_lshlrev_b32_e32 v159, 4, v123
	s_clause 0x1
	global_load_b128 v[182:185], v159, s[8:9] offset:384
	global_load_b128 v[186:189], v157, s[8:9] offset:384
	s_waitcnt vmcnt(1)
	v_mul_f64 v[122:123], v[118:119], v[184:185]
	s_delay_alu instid0(VALU_DEP_1) | instskip(SKIP_1) | instid1(VALU_DEP_1)
	v_fma_f64 v[122:123], v[116:117], v[182:183], -v[122:123]
	v_mul_f64 v[116:117], v[116:117], v[184:185]
	v_fma_f64 v[118:119], v[118:119], v[182:183], v[116:117]
	s_waitcnt vmcnt(0)
	v_mul_f64 v[116:117], v[114:115], v[188:189]
	s_delay_alu instid0(VALU_DEP_1) | instskip(SKIP_1) | instid1(VALU_DEP_1)
	v_fma_f64 v[116:117], v[112:113], v[186:187], -v[116:117]
	v_mul_f64 v[112:113], v[112:113], v[188:189]
	v_fma_f64 v[112:113], v[114:115], v[186:187], v[112:113]
	scratch_load_b64 v[114:115], off, off offset:16 ; 8-byte Folded Reload
	s_waitcnt vmcnt(0)
	v_mov_b32_e32 v160, v114
	s_delay_alu instid0(VALU_DEP_1) | instskip(NEXT) | instid1(VALU_DEP_1)
	v_lshrrev_b16 v114, 2, v160
	v_and_b32_e32 v114, 0xffff, v114
	s_delay_alu instid0(VALU_DEP_1) | instskip(NEXT) | instid1(VALU_DEP_1)
	v_mul_u32_u24_e32 v114, 0x4925, v114
	v_lshrrev_b32_e32 v114, 17, v114
	s_delay_alu instid0(VALU_DEP_1) | instskip(NEXT) | instid1(VALU_DEP_1)
	v_mul_lo_u16 v115, v114, 28
	v_sub_nc_u16 v115, v160, v115
	v_add_nc_u16 v160, v191, 0x1f8
	s_delay_alu instid0(VALU_DEP_2) | instskip(NEXT) | instid1(VALU_DEP_2)
	v_and_b32_e32 v115, 0xffff, v115
	v_lshrrev_b16 v161, 2, v160
	s_delay_alu instid0(VALU_DEP_2) | instskip(NEXT) | instid1(VALU_DEP_2)
	v_lshlrev_b32_e32 v115, 4, v115
	v_and_b32_e32 v161, 0xffff, v161
	s_delay_alu instid0(VALU_DEP_1) | instskip(NEXT) | instid1(VALU_DEP_1)
	v_mul_u32_u24_e32 v161, 0x4925, v161
	v_lshrrev_b32_e32 v162, 17, v161
	s_delay_alu instid0(VALU_DEP_1) | instskip(NEXT) | instid1(VALU_DEP_1)
	v_mul_lo_u16 v161, v162, 28
	v_sub_nc_u16 v160, v160, v161
	s_delay_alu instid0(VALU_DEP_1) | instskip(NEXT) | instid1(VALU_DEP_1)
	v_and_b32_e32 v160, 0xffff, v160
	v_lshlrev_b32_e32 v163, 4, v160
	s_clause 0x1
	global_load_b128 v[182:185], v115, s[8:9] offset:384
	global_load_b128 v[186:189], v163, s[8:9] offset:384
	s_waitcnt vmcnt(1)
	v_mul_f64 v[160:161], v[106:107], v[184:185]
	s_delay_alu instid0(VALU_DEP_1) | instskip(SKIP_1) | instid1(VALU_DEP_1)
	v_fma_f64 v[160:161], v[104:105], v[182:183], -v[160:161]
	v_mul_f64 v[104:105], v[104:105], v[184:185]
	v_fma_f64 v[165:166], v[106:107], v[182:183], v[104:105]
	v_lshrrev_b16 v104, 2, v177
	s_delay_alu instid0(VALU_DEP_1) | instskip(NEXT) | instid1(VALU_DEP_1)
	v_and_b32_e32 v104, 0xffff, v104
	v_mul_u32_u24_e32 v104, 0x4925, v104
	s_delay_alu instid0(VALU_DEP_1) | instskip(NEXT) | instid1(VALU_DEP_1)
	v_lshrrev_b32_e32 v164, 17, v104
	v_mul_lo_u16 v104, v164, 28
	s_delay_alu instid0(VALU_DEP_1) | instskip(NEXT) | instid1(VALU_DEP_1)
	v_sub_nc_u16 v104, v177, v104
	v_and_b32_e32 v104, 0xffff, v104
	s_delay_alu instid0(VALU_DEP_1) | instskip(SKIP_4) | instid1(VALU_DEP_2)
	v_lshlrev_b32_e32 v167, 4, v104
	global_load_b128 v[104:107], v167, s[8:9] offset:384
	s_waitcnt vmcnt(0) lgkmcnt(0)
	v_mul_f64 v[174:175], v[110:111], v[106:107]
	v_mul_f64 v[106:107], v[108:109], v[106:107]
	v_fma_f64 v[174:175], v[108:109], v[104:105], -v[174:175]
	s_delay_alu instid0(VALU_DEP_2) | instskip(SKIP_1) | instid1(VALU_DEP_1)
	v_fma_f64 v[108:109], v[110:111], v[104:105], v[106:107]
	v_mul_f64 v[104:105], v[102:103], v[188:189]
	v_fma_f64 v[110:111], v[100:101], v[186:187], -v[104:105]
	v_mul_f64 v[100:101], v[100:101], v[188:189]
	s_delay_alu instid0(VALU_DEP_1) | instskip(SKIP_1) | instid1(VALU_DEP_1)
	v_fma_f64 v[179:180], v[102:103], v[186:187], v[100:101]
	v_add_nc_u16 v100, v191, 0x230
	v_lshrrev_b16 v101, 2, v100
	s_delay_alu instid0(VALU_DEP_1) | instskip(NEXT) | instid1(VALU_DEP_1)
	v_and_b32_e32 v101, 0xffff, v101
	v_mul_u32_u24_e32 v101, 0x4925, v101
	s_delay_alu instid0(VALU_DEP_1) | instskip(NEXT) | instid1(VALU_DEP_1)
	v_lshrrev_b32_e32 v168, 17, v101
	v_mul_lo_u16 v101, v168, 28
	s_delay_alu instid0(VALU_DEP_1) | instskip(SKIP_1) | instid1(VALU_DEP_2)
	v_sub_nc_u16 v100, v100, v101
	v_add_nc_u16 v101, v191, 0x268
	v_and_b32_e32 v100, 0xffff, v100
	s_delay_alu instid0(VALU_DEP_2) | instskip(NEXT) | instid1(VALU_DEP_2)
	v_lshrrev_b16 v102, 2, v101
	v_lshlrev_b32_e32 v176, 4, v100
	s_delay_alu instid0(VALU_DEP_2) | instskip(NEXT) | instid1(VALU_DEP_1)
	v_and_b32_e32 v102, 0xffff, v102
	v_mul_u32_u24_e32 v102, 0x4925, v102
	s_delay_alu instid0(VALU_DEP_1) | instskip(NEXT) | instid1(VALU_DEP_1)
	v_lshrrev_b32_e32 v169, 17, v102
	v_mul_lo_u16 v102, v169, 28
	s_delay_alu instid0(VALU_DEP_1) | instskip(NEXT) | instid1(VALU_DEP_1)
	v_sub_nc_u16 v101, v101, v102
	v_and_b32_e32 v101, 0xffff, v101
	s_delay_alu instid0(VALU_DEP_1)
	v_lshlrev_b32_e32 v178, 4, v101
	s_clause 0x1
	global_load_b128 v[100:103], v176, s[8:9] offset:384
	global_load_b128 v[104:107], v178, s[8:9] offset:384
	s_waitcnt vmcnt(1)
	v_mul_f64 v[182:183], v[98:99], v[102:103]
	s_delay_alu instid0(VALU_DEP_1) | instskip(SKIP_1) | instid1(VALU_DEP_1)
	v_fma_f64 v[182:183], v[96:97], v[100:101], -v[182:183]
	v_mul_f64 v[96:97], v[96:97], v[102:103]
	v_fma_f64 v[100:101], v[98:99], v[100:101], v[96:97]
	s_waitcnt vmcnt(0)
	v_mul_f64 v[96:97], v[94:95], v[106:107]
	s_delay_alu instid0(VALU_DEP_1) | instskip(SKIP_1) | instid1(VALU_DEP_1)
	v_fma_f64 v[102:103], v[92:93], v[104:105], -v[96:97]
	v_mul_f64 v[92:93], v[92:93], v[106:107]
	v_fma_f64 v[104:105], v[94:95], v[104:105], v[92:93]
	v_add_nc_u16 v92, v191, 0x2a0
	s_delay_alu instid0(VALU_DEP_1) | instskip(NEXT) | instid1(VALU_DEP_1)
	v_lshrrev_b16 v93, 2, v92
	v_and_b32_e32 v93, 0xffff, v93
	s_delay_alu instid0(VALU_DEP_1) | instskip(NEXT) | instid1(VALU_DEP_1)
	v_mul_u32_u24_e32 v93, 0x4925, v93
	v_lshrrev_b32_e32 v181, 17, v93
	s_delay_alu instid0(VALU_DEP_1) | instskip(NEXT) | instid1(VALU_DEP_1)
	v_mul_lo_u16 v93, v181, 28
	v_sub_nc_u16 v92, v92, v93
	v_add_nc_u16 v93, v191, 0x2d8
	s_delay_alu instid0(VALU_DEP_2) | instskip(NEXT) | instid1(VALU_DEP_2)
	v_and_b32_e32 v92, 0xffff, v92
	v_lshrrev_b16 v94, 2, v93
	s_delay_alu instid0(VALU_DEP_2) | instskip(NEXT) | instid1(VALU_DEP_2)
	v_lshlrev_b32_e32 v185, 4, v92
	v_and_b32_e32 v94, 0xffff, v94
	s_delay_alu instid0(VALU_DEP_1) | instskip(NEXT) | instid1(VALU_DEP_1)
	v_mul_u32_u24_e32 v94, 0x4925, v94
	v_lshrrev_b32_e32 v184, 17, v94
	s_delay_alu instid0(VALU_DEP_1) | instskip(NEXT) | instid1(VALU_DEP_1)
	v_mul_lo_u16 v94, v184, 28
	v_sub_nc_u16 v93, v93, v94
	s_delay_alu instid0(VALU_DEP_1) | instskip(NEXT) | instid1(VALU_DEP_1)
	v_and_b32_e32 v93, 0xffff, v93
	v_lshlrev_b32_e32 v186, 4, v93
	s_clause 0x1
	global_load_b128 v[92:95], v185, s[8:9] offset:384
	global_load_b128 v[96:99], v186, s[8:9] offset:384
	s_waitcnt vmcnt(1)
	v_mul_f64 v[106:107], v[90:91], v[94:95]
	s_delay_alu instid0(VALU_DEP_1) | instskip(SKIP_1) | instid1(VALU_DEP_1)
	v_fma_f64 v[106:107], v[88:89], v[92:93], -v[106:107]
	v_mul_f64 v[88:89], v[88:89], v[94:95]
	v_fma_f64 v[92:93], v[90:91], v[92:93], v[88:89]
	s_waitcnt vmcnt(0)
	v_mul_f64 v[88:89], v[86:87], v[98:99]
	s_delay_alu instid0(VALU_DEP_1) | instskip(SKIP_1) | instid1(VALU_DEP_1)
	v_fma_f64 v[94:95], v[84:85], v[96:97], -v[88:89]
	v_mul_f64 v[84:85], v[84:85], v[98:99]
	v_fma_f64 v[96:97], v[86:87], v[96:97], v[84:85]
	v_add_nc_u16 v84, v191, 0x310
	s_delay_alu instid0(VALU_DEP_1) | instskip(NEXT) | instid1(VALU_DEP_1)
	v_lshrrev_b16 v85, 2, v84
	v_and_b32_e32 v85, 0xffff, v85
	s_delay_alu instid0(VALU_DEP_1) | instskip(NEXT) | instid1(VALU_DEP_1)
	v_mul_u32_u24_e32 v85, 0x4925, v85
	v_lshrrev_b32_e32 v187, 17, v85
	s_delay_alu instid0(VALU_DEP_1) | instskip(NEXT) | instid1(VALU_DEP_1)
	v_mul_lo_u16 v85, v187, 28
	v_sub_nc_u16 v84, v84, v85
	v_add_nc_u16 v85, v191, 0x348
	s_delay_alu instid0(VALU_DEP_2) | instskip(NEXT) | instid1(VALU_DEP_2)
	v_and_b32_e32 v84, 0xffff, v84
	v_lshrrev_b16 v86, 2, v85
	s_delay_alu instid0(VALU_DEP_2) | instskip(NEXT) | instid1(VALU_DEP_2)
	v_lshlrev_b32_e32 v189, 4, v84
	v_and_b32_e32 v86, 0xffff, v86
	s_delay_alu instid0(VALU_DEP_1) | instskip(NEXT) | instid1(VALU_DEP_1)
	v_mul_u32_u24_e32 v86, 0x4925, v86
	v_lshrrev_b32_e32 v188, 17, v86
	s_delay_alu instid0(VALU_DEP_1) | instskip(NEXT) | instid1(VALU_DEP_1)
	v_mul_lo_u16 v86, v188, 28
	v_sub_nc_u16 v85, v85, v86
	s_delay_alu instid0(VALU_DEP_1) | instskip(NEXT) | instid1(VALU_DEP_1)
	v_and_b32_e32 v85, 0xffff, v85
	v_lshlrev_b32_e32 v190, 4, v85
	s_clause 0x1
	global_load_b128 v[84:87], v189, s[8:9] offset:384
	global_load_b128 v[88:91], v190, s[8:9] offset:384
	s_waitcnt vmcnt(0)
	s_barrier
	buffer_gl0_inv
	v_mul_f64 v[98:99], v[78:79], v[86:87]
	s_delay_alu instid0(VALU_DEP_1) | instskip(SKIP_1) | instid1(VALU_DEP_1)
	v_fma_f64 v[98:99], v[76:77], v[84:85], -v[98:99]
	v_mul_f64 v[76:77], v[76:77], v[86:87]
	v_fma_f64 v[84:85], v[78:79], v[84:85], v[76:77]
	v_mul_f64 v[76:77], v[82:83], v[90:91]
	v_add_f64 v[78:79], v[74:75], -v[142:143]
	s_delay_alu instid0(VALU_DEP_2) | instskip(SKIP_1) | instid1(VALU_DEP_3)
	v_fma_f64 v[86:87], v[80:81], v[88:89], -v[76:77]
	v_mul_f64 v[76:77], v[80:81], v[90:91]
	v_fma_f64 v[74:75], v[74:75], 2.0, -v[78:79]
	s_delay_alu instid0(VALU_DEP_2) | instskip(SKIP_4) | instid1(VALU_DEP_2)
	v_fma_f64 v[80:81], v[82:83], v[88:89], v[76:77]
	v_add_f64 v[76:77], v[72:73], -v[144:145]
	v_cndmask_b32_e64 v82, 0, 0x380, s1
	v_lshlrev_b32_e32 v83, 4, v241
	v_lshlrev_b32_e32 v241, 2, v197
	v_add3_u32 v82, 0, v82, v83
	v_fma_f64 v[72:73], v[72:73], 2.0, -v[76:77]
	ds_store_b128 v82, v[76:79] offset:448
	ds_store_b128 v82, v[72:75]
	v_add_f64 v[72:73], v[68:69], -v[140:141]
	v_add_f64 v[74:75], v[70:71], -v[136:137]
	v_and_b32_e32 v76, 0xffff, v146
	s_delay_alu instid0(VALU_DEP_1) | instskip(NEXT) | instid1(VALU_DEP_1)
	v_mul_u32_u24_e32 v76, 0x380, v76
	v_add3_u32 v76, 0, v76, v147
	v_fma_f64 v[68:69], v[68:69], 2.0, -v[72:73]
	v_fma_f64 v[70:71], v[70:71], 2.0, -v[74:75]
	ds_store_b128 v76, v[72:75] offset:448
	ds_store_b128 v76, v[68:71]
	v_add_f64 v[68:69], v[64:65], -v[138:139]
	v_add_f64 v[70:71], v[66:67], -v[134:135]
	v_and_b32_e32 v72, 0xffff, v150
	s_delay_alu instid0(VALU_DEP_1) | instskip(NEXT) | instid1(VALU_DEP_1)
	v_mul_u32_u24_e32 v72, 0x380, v72
	v_add3_u32 v72, 0, v72, v151
	v_fma_f64 v[64:65], v[64:65], 2.0, -v[68:69]
	v_fma_f64 v[66:67], v[66:67], 2.0, -v[70:71]
	ds_store_b128 v72, v[64:67]
	ds_store_b128 v72, v[68:71] offset:448
	v_add_f64 v[64:65], v[60:61], -v[132:133]
	v_add_f64 v[66:67], v[62:63], -v[128:129]
	v_and_b32_e32 v68, 0xffff, v148
	s_delay_alu instid0(VALU_DEP_1) | instskip(NEXT) | instid1(VALU_DEP_1)
	v_mul_u32_u24_e32 v68, 0x380, v68
	v_add3_u32 v68, 0, v68, v149
	v_fma_f64 v[60:61], v[60:61], 2.0, -v[64:65]
	v_fma_f64 v[62:63], v[62:63], 2.0, -v[66:67]
	ds_store_b128 v68, v[60:63]
	ds_store_b128 v68, v[64:67] offset:448
	v_add_f64 v[60:61], v[56:57], -v[130:131]
	v_add_f64 v[62:63], v[58:59], -v[124:125]
	v_mul_u32_u24_e32 v64, 0x380, v153
	s_delay_alu instid0(VALU_DEP_1) | instskip(NEXT) | instid1(VALU_DEP_4)
	v_add3_u32 v64, 0, v64, v155
	v_fma_f64 v[56:57], v[56:57], 2.0, -v[60:61]
	s_delay_alu instid0(VALU_DEP_4)
	v_fma_f64 v[58:59], v[58:59], 2.0, -v[62:63]
	ds_store_b128 v64, v[56:59]
	ds_store_b128 v64, v[60:63] offset:448
	v_add_f64 v[56:57], v[52:53], -v[126:127]
	v_add_f64 v[58:59], v[54:55], -v[120:121]
	v_mul_u32_u24_e32 v60, 0x380, v152
	s_delay_alu instid0(VALU_DEP_1) | instskip(NEXT) | instid1(VALU_DEP_4)
	v_add3_u32 v60, 0, v60, v154
	v_fma_f64 v[52:53], v[52:53], 2.0, -v[56:57]
	s_delay_alu instid0(VALU_DEP_4)
	v_fma_f64 v[54:55], v[54:55], 2.0, -v[58:59]
	ds_store_b128 v60, v[52:55]
	ds_store_b128 v60, v[56:59] offset:448
	v_add_f64 v[52:53], v[48:49], -v[122:123]
	v_add_f64 v[54:55], v[50:51], -v[118:119]
	v_mul_u32_u24_e32 v56, 0x380, v158
	s_delay_alu instid0(VALU_DEP_1) | instskip(NEXT) | instid1(VALU_DEP_4)
	v_add3_u32 v56, 0, v56, v159
	v_fma_f64 v[48:49], v[48:49], 2.0, -v[52:53]
	s_delay_alu instid0(VALU_DEP_4)
	v_fma_f64 v[50:51], v[50:51], 2.0, -v[54:55]
	ds_store_b128 v56, v[48:51]
	ds_store_b128 v56, v[52:55] offset:448
	v_add_f64 v[48:49], v[44:45], -v[116:117]
	v_add_f64 v[50:51], v[46:47], -v[112:113]
	v_mul_u32_u24_e32 v52, 0x380, v156
	s_delay_alu instid0(VALU_DEP_1) | instskip(NEXT) | instid1(VALU_DEP_4)
	v_add3_u32 v52, 0, v52, v157
	v_fma_f64 v[44:45], v[44:45], 2.0, -v[48:49]
	s_delay_alu instid0(VALU_DEP_4)
	v_fma_f64 v[46:47], v[46:47], 2.0, -v[50:51]
	ds_store_b128 v52, v[44:47]
	ds_store_b128 v52, v[48:51] offset:448
	v_add_f64 v[44:45], v[40:41], -v[160:161]
	v_add_f64 v[46:47], v[42:43], -v[165:166]
	v_mul_u32_u24_e32 v48, 0x380, v114
	s_delay_alu instid0(VALU_DEP_1) | instskip(NEXT) | instid1(VALU_DEP_4)
	v_add3_u32 v48, 0, v48, v115
	v_fma_f64 v[40:41], v[40:41], 2.0, -v[44:45]
	s_delay_alu instid0(VALU_DEP_4)
	v_fma_f64 v[42:43], v[42:43], 2.0, -v[46:47]
	ds_store_b128 v48, v[40:43]
	ds_store_b128 v48, v[44:47] offset:448
	v_add_f64 v[40:41], v[36:37], -v[110:111]
	v_add_f64 v[42:43], v[38:39], -v[179:180]
	v_mul_u32_u24_e32 v44, 0x380, v162
	v_lshlrev_b32_e32 v180, 2, v192
	s_delay_alu instid0(VALU_DEP_2)
	v_add3_u32 v44, 0, v44, v163
	v_fma_f64 v[36:37], v[36:37], 2.0, -v[40:41]
	v_fma_f64 v[38:39], v[38:39], 2.0, -v[42:43]
	ds_store_b128 v44, v[40:43] offset:448
	ds_store_b128 v44, v[36:39]
	v_add_f64 v[36:37], v[32:33], -v[182:183]
	v_add_f64 v[38:39], v[34:35], -v[100:101]
	v_mul_u32_u24_e32 v40, 0x380, v168
	v_lshlrev_b32_e32 v182, 2, v193
	s_delay_alu instid0(VALU_DEP_2)
	v_add3_u32 v40, 0, v40, v176
	v_lshlrev_b32_e32 v176, 2, v195
	v_fma_f64 v[32:33], v[32:33], 2.0, -v[36:37]
	v_fma_f64 v[34:35], v[34:35], 2.0, -v[38:39]
	ds_store_b128 v40, v[32:35]
	ds_store_b128 v40, v[36:39] offset:448
	v_add_f64 v[32:33], v[28:29], -v[102:103]
	v_add_f64 v[34:35], v[30:31], -v[104:105]
	v_mul_u32_u24_e32 v36, 0x380, v169
	s_delay_alu instid0(VALU_DEP_1)
	v_add3_u32 v36, 0, v36, v178
	v_lshlrev_b32_e32 v178, 2, v194
	v_fma_f64 v[28:29], v[28:29], 2.0, -v[32:33]
	v_fma_f64 v[30:31], v[30:31], 2.0, -v[34:35]
	ds_store_b128 v36, v[28:31]
	ds_store_b128 v36, v[32:35] offset:448
	v_add_f64 v[28:29], v[24:25], -v[106:107]
	v_add_f64 v[30:31], v[26:27], -v[92:93]
	v_mul_u32_u24_e32 v32, 0x380, v181
	v_mul_u32_u24_e32 v33, 0x380, v188
	;; [unrolled: 1-line block ×3, first 2 shown]
	s_delay_alu instid0(VALU_DEP_3)
	v_add3_u32 v32, 0, v32, v185
	v_fma_f64 v[24:25], v[24:25], 2.0, -v[28:29]
	v_fma_f64 v[26:27], v[26:27], 2.0, -v[30:31]
	ds_store_b128 v32, v[24:27]
	ds_store_b128 v32, v[28:31] offset:448
	v_add_f64 v[24:25], v[20:21], -v[94:95]
	v_add_f64 v[26:27], v[22:23], -v[96:97]
	v_mul_u32_u24_e32 v28, 0x380, v184
	v_add_f64 v[30:31], v[18:19], -v[108:109]
	v_mul_u32_u24_e32 v32, 0x380, v187
	v_lshlrev_b32_e32 v184, 2, v196
	s_delay_alu instid0(VALU_DEP_4) | instskip(NEXT) | instid1(VALU_DEP_3)
	v_add3_u32 v28, 0, v28, v186
	v_add3_u32 v32, 0, v32, v189
	v_fma_f64 v[20:21], v[20:21], 2.0, -v[24:25]
	v_fma_f64 v[22:23], v[22:23], 2.0, -v[26:27]
	ds_store_b128 v28, v[20:23]
	ds_store_b128 v28, v[24:27] offset:448
	v_add_f64 v[20:21], v[12:13], -v[98:99]
	v_add_f64 v[22:23], v[14:15], -v[84:85]
	;; [unrolled: 1-line block ×5, first 2 shown]
	v_fma_f64 v[18:19], v[18:19], 2.0, -v[30:31]
	v_fma_f64 v[12:13], v[12:13], 2.0, -v[20:21]
	;; [unrolled: 1-line block ×6, first 2 shown]
	ds_store_b128 v32, v[12:15]
	v_add3_u32 v12, 0, v33, v190
	v_add3_u32 v13, 0, v34, v167
	ds_store_b128 v32, v[20:23] offset:448
	ds_store_b128 v12, v[8:11]
	ds_store_b128 v12, v[24:27] offset:448
	ds_store_b128 v13, v[16:19]
	ds_store_b128 v13, v[28:31] offset:448
	s_and_saveexec_b32 s1, s0
	s_cbranch_execz .LBB0_27
; %bb.26:
	v_add_nc_u16 v8, v191, 0x3b8
	s_delay_alu instid0(VALU_DEP_1) | instskip(NEXT) | instid1(VALU_DEP_1)
	v_lshrrev_b16 v9, 2, v8
	v_and_b32_e32 v9, 0xffff, v9
	s_delay_alu instid0(VALU_DEP_1) | instskip(NEXT) | instid1(VALU_DEP_1)
	v_mul_u32_u24_e32 v9, 0x4925, v9
	v_lshrrev_b32_e32 v9, 17, v9
	s_delay_alu instid0(VALU_DEP_1) | instskip(NEXT) | instid1(VALU_DEP_1)
	v_mul_lo_u16 v9, v9, 28
	v_sub_nc_u16 v8, v8, v9
	s_delay_alu instid0(VALU_DEP_1) | instskip(NEXT) | instid1(VALU_DEP_1)
	v_and_b32_e32 v8, 0xffff, v8
	v_lshlrev_b32_e32 v14, 4, v8
	global_load_b128 v[8:11], v14, s[8:9] offset:384
	s_waitcnt vmcnt(0)
	v_mul_f64 v[12:13], v[0:1], v[10:11]
	v_mul_f64 v[10:11], v[2:3], v[10:11]
	s_delay_alu instid0(VALU_DEP_2) | instskip(NEXT) | instid1(VALU_DEP_2)
	v_fma_f64 v[2:3], v[2:3], v[8:9], v[12:13]
	v_fma_f64 v[0:1], v[0:1], v[8:9], -v[10:11]
	v_add_nc_u32_e32 v8, 0, v14
	s_delay_alu instid0(VALU_DEP_3) | instskip(NEXT) | instid1(VALU_DEP_3)
	v_add_f64 v[2:3], v[6:7], -v[2:3]
	v_add_f64 v[0:1], v[4:5], -v[0:1]
	s_delay_alu instid0(VALU_DEP_2) | instskip(NEXT) | instid1(VALU_DEP_2)
	v_fma_f64 v[6:7], v[6:7], 2.0, -v[2:3]
	v_fma_f64 v[4:5], v[4:5], 2.0, -v[0:1]
	ds_store_b128 v8, v[4:7] offset:30464
	ds_store_b128 v8, v[0:3] offset:30912
.LBB0_27:
	s_or_b32 exec_lo, exec_lo, s1
	v_mul_u32_u24_e32 v0, 6, v191
	s_waitcnt lgkmcnt(0)
	s_barrier
	buffer_gl0_inv
	v_lshrrev_b16 v1, 3, v194
	v_dual_mov_b32 v239, v242 :: v_dual_lshlrev_b32 v0, 4, v0
	v_lshrrev_b16 v2, 3, v193
	v_mov_b32_e32 v179, v242
	s_delay_alu instid0(VALU_DEP_4)
	v_and_b32_e32 v1, 31, v1
	s_clause 0x5
	global_load_b128 v[100:103], v0, s[8:9] offset:832
	global_load_b128 v[104:107], v0, s[8:9] offset:848
	global_load_b128 v[108:111], v0, s[8:9] offset:864
	global_load_b128 v[112:115], v0, s[8:9] offset:880
	global_load_b128 v[120:123], v0, s[8:9] offset:896
	global_load_b128 v[228:231], v0, s[8:9] offset:912
	v_mul_lo_u16 v1, v1, 37
	v_dual_mov_b32 v183, v242 :: v_dual_and_b32 v2, 0xffff, v2
	v_mov_b32_e32 v185, v242
	s_mov_b32 s24, 0x37e14327
	s_delay_alu instid0(VALU_DEP_3)
	v_lshrrev_b16 v1, 8, v1
	s_mov_b32 s10, 0x36b3c0b5
	s_mov_b32 s26, 0xe976ee23
	;; [unrolled: 1-line block ×4, first 2 shown]
	v_mul_lo_u16 v1, v1, 56
	s_mov_b32 s11, 0x3fac98ee
	s_mov_b32 s27, 0xbfe11646
	;; [unrolled: 1-line block ×3, first 2 shown]
	v_lshlrev_b64 v[238:239], 4, v[238:239]
	v_sub_nc_u16 v0, v194, v1
	v_lshrrev_b16 v1, 3, v192
	s_mov_b32 s16, 0x5476071b
	s_mov_b32 s20, 0xb247c609
	;; [unrolled: 1-line block ×3, first 2 shown]
	v_and_b32_e32 v255, 0xff, v0
	v_and_b32_e32 v1, 31, v1
	v_add_co_u32 v168, s0, s8, v238
	s_mov_b32 s19, 0xbfe77f67
	s_delay_alu instid0(VALU_DEP_3) | instskip(NEXT) | instid1(VALU_DEP_3)
	v_mul_u32_u24_e32 v0, 6, v255
	v_mul_lo_u16 v1, v1, 37
	v_mov_b32_e32 v177, v242
	s_mov_b32 s21, 0x3fd5d0dc
	s_mov_b32 s23, 0xbfd5d0dc
	v_lshlrev_b32_e32 v0, 4, v0
	v_lshrrev_b16 v1, 8, v1
	s_mov_b32 s18, s16
	s_mov_b32 s22, s20
	;; [unrolled: 1-line block ×3, first 2 shown]
	s_clause 0x1
	global_load_b128 v[156:159], v0, s[8:9] offset:832
	global_load_b128 v[24:27], v0, s[8:9] offset:848
	v_mul_lo_u16 v1, v1, 56
	s_clause 0x3
	global_load_b128 v[20:23], v0, s[8:9] offset:864
	global_load_b128 v[76:79], v0, s[8:9] offset:880
	;; [unrolled: 1-line block ×4, first 2 shown]
	v_sub_nc_u16 v1, v192, v1
	s_mov_b32 s5, 0xbff2aaaa
	s_mov_b32 s14, 0x37c3f68c
	;; [unrolled: 1-line block ×3, first 2 shown]
	v_mov_b32_e32 v181, v242
	v_and_b32_e32 v3, 0xff, v1
	v_mul_u32_u24_e32 v1, 0x2493, v2
	s_delay_alu instid0(VALU_DEP_2) | instskip(NEXT) | instid1(VALU_DEP_2)
	v_mul_u32_u24_e32 v2, 6, v3
	v_lshrrev_b32_e32 v1, 16, v1
	scratch_store_b32 off, v3, off offset:16 ; 4-byte Folded Spill
	v_lshlrev_b32_e32 v0, 4, v2
	v_mul_lo_u16 v1, v1, 56
	global_load_b128 v[56:59], v0, s[8:9] offset:832
	v_sub_nc_u16 v1, v193, v1
	s_clause 0x3
	global_load_b128 v[44:47], v0, s[8:9] offset:848
	global_load_b128 v[40:43], v0, s[8:9] offset:864
	;; [unrolled: 1-line block ×4, first 2 shown]
	v_and_b32_e32 v169, 0xffff, v1
	s_delay_alu instid0(VALU_DEP_1) | instskip(SKIP_1) | instid1(VALU_DEP_2)
	v_mul_u32_u24_e32 v1, 6, v169
	v_lshl_add_u32 v169, v169, 4, 0
	v_lshlrev_b32_e32 v1, 4, v1
	s_clause 0x6
	global_load_b128 v[28:31], v0, s[8:9] offset:912
	global_load_b128 v[64:67], v1, s[8:9] offset:832
	;; [unrolled: 1-line block ×7, first 2 shown]
	ds_load_b128 v[96:99], v240 offset:4480
	ds_load_b128 v[128:131], v240 offset:5376
	;; [unrolled: 1-line block ×10, first 2 shown]
	scratch_store_b64 off, v[191:192], off offset:120 ; 8-byte Folded Spill
	ds_load_b128 v[222:225], v240 offset:22400
	ds_load_b128 v[232:235], v240 offset:23296
	;; [unrolled: 1-line block ×5, first 2 shown]
	ds_load_b128 v[16:19], v240
	ds_load_b128 v[12:15], v240 offset:896
	ds_load_b128 v[247:250], v240 offset:27776
	;; [unrolled: 1-line block ×6, first 2 shown]
	s_waitcnt vmcnt(23) lgkmcnt(21)
	v_mul_f64 v[142:143], v[96:97], v[102:103]
	s_waitcnt lgkmcnt(20)
	v_mul_f64 v[148:149], v[130:131], v[102:103]
	v_mul_f64 v[140:141], v[98:99], v[102:103]
	;; [unrolled: 1-line block ×3, first 2 shown]
	s_waitcnt vmcnt(22) lgkmcnt(19)
	v_mul_f64 v[166:167], v[134:135], v[106:107]
	s_waitcnt vmcnt(21) lgkmcnt(16)
	v_mul_f64 v[214:215], v[200:201], v[110:111]
	s_waitcnt vmcnt(20) lgkmcnt(14)
	v_mul_f64 v[216:217], v[208:209], v[114:115]
	v_mul_f64 v[226:227], v[206:207], v[114:115]
	s_waitcnt lgkmcnt(13)
	v_mul_f64 v[236:237], v[220:221], v[114:115]
	v_mul_f64 v[114:115], v[218:219], v[114:115]
	s_waitcnt vmcnt(19) lgkmcnt(11)
	v_mul_f64 v[251:252], v[224:225], v[122:123]
	v_mul_f64 v[253:254], v[222:223], v[122:123]
	s_waitcnt lgkmcnt(10)
	v_mul_f64 v[0:1], v[234:235], v[122:123]
	v_mul_f64 v[122:123], v[232:233], v[122:123]
	s_waitcnt vmcnt(18) lgkmcnt(7)
	v_mul_f64 v[164:165], v[243:244], v[230:231]
	v_mul_f64 v[190:191], v[132:133], v[106:107]
	;; [unrolled: 1-line block ×7, first 2 shown]
	s_waitcnt lgkmcnt(4)
	v_mul_f64 v[4:5], v[249:250], v[230:231]
	v_mul_f64 v[174:175], v[247:248], v[230:231]
	v_fma_f64 v[2:3], v[98:99], v[100:101], v[142:143]
	v_fma_f64 v[6:7], v[96:97], v[100:101], -v[140:141]
	v_fma_f64 v[202:203], v[132:133], v[104:105], -v[166:167]
	;; [unrolled: 1-line block ×4, first 2 shown]
	v_fma_f64 v[216:217], v[208:209], v[112:113], v[226:227]
	v_fma_f64 v[206:207], v[218:219], v[112:113], -v[236:237]
	v_fma_f64 v[208:209], v[220:221], v[112:113], v[114:115]
	s_waitcnt vmcnt(17)
	v_mul_f64 v[166:167], v[162:163], v[158:159]
	v_fma_f64 v[220:221], v[222:223], v[120:121], -v[251:252]
	v_fma_f64 v[222:223], v[224:225], v[120:121], v[253:254]
	v_fma_f64 v[218:219], v[234:235], v[120:121], v[122:123]
	s_waitcnt vmcnt(15)
	v_mul_f64 v[234:235], v[126:127], v[22:23]
	v_mul_f64 v[22:23], v[124:125], v[22:23]
	v_fma_f64 v[226:227], v[245:246], v[228:229], v[164:165]
	s_waitcnt vmcnt(13) lgkmcnt(3)
	v_mul_f64 v[164:165], v[116:117], v[74:75]
	v_fma_f64 v[204:205], v[134:135], v[104:105], v[190:191]
	v_fma_f64 v[190:191], v[136:137], v[104:105], -v[192:193]
	v_fma_f64 v[192:193], v[138:139], v[104:105], v[106:107]
	v_fma_f64 v[210:211], v[144:145], v[108:109], -v[210:211]
	v_fma_f64 v[212:213], v[146:147], v[108:109], v[212:213]
	v_fma_f64 v[200:201], v[200:201], v[108:109], v[110:111]
	scratch_store_b64 off, v[2:3], off offset:48 ; 8-byte Folded Spill
	v_fma_f64 v[2:3], v[128:129], v[100:101], -v[148:149]
	ds_load_b128 v[152:155], v240 offset:10752
	ds_load_b128 v[96:99], v240 offset:11648
	v_fma_f64 v[124:125], v[124:125], v[20:21], -v[234:235]
	v_fma_f64 v[22:23], v[126:127], v[20:21], v[22:23]
	v_lshlrev_b64 v[20:21], 4, v[241:242]
	scratch_store_b64 off, v[2:3], off offset:32 ; 8-byte Folded Spill
	v_fma_f64 v[2:3], v[130:131], v[100:101], v[102:103]
	scratch_store_b64 off, v[2:3], off offset:40 ; 8-byte Folded Spill
	v_mul_f64 v[2:3], v[245:246], v[230:231]
	ds_load_b128 v[148:151], v240 offset:19712
	ds_load_b128 v[100:103], v240 offset:20608
	v_mul_f64 v[230:231], v[160:161], v[158:159]
	v_fma_f64 v[158:159], v[232:233], v[120:121], -v[0:1]
	s_waitcnt lgkmcnt(3)
	v_mul_f64 v[0:1], v[154:155], v[26:27]
	v_mul_f64 v[232:233], v[152:153], v[26:27]
	ds_load_b128 v[140:143], v240 offset:28672
	ds_load_b128 v[104:107], v240 offset:29568
	;; [unrolled: 1-line block ×9, first 2 shown]
	v_fma_f64 v[26:27], v[247:248], v[228:229], -v[4:5]
	v_fma_f64 v[4:5], v[160:161], v[156:157], -v[166:167]
	v_lshlrev_b64 v[160:161], 4, v[176:177]
	s_waitcnt lgkmcnt(10)
	v_mul_f64 v[236:237], v[150:151], v[78:79]
	v_mul_f64 v[78:79], v[148:149], v[78:79]
	s_waitcnt vmcnt(8) lgkmcnt(9)
	v_mul_f64 v[126:127], v[102:103], v[38:39]
	v_mul_f64 v[38:39], v[100:101], v[38:39]
	s_waitcnt lgkmcnt(8)
	v_mul_f64 v[166:167], v[142:143], v[70:71]
	s_waitcnt vmcnt(7) lgkmcnt(2)
	v_mul_f64 v[176:177], v[138:139], v[34:35]
	v_mul_f64 v[34:35], v[136:137], v[34:35]
	v_fma_f64 v[224:225], v[243:244], v[228:229], -v[2:3]
	v_mul_f64 v[2:3], v[118:119], v[74:75]
	v_fma_f64 v[162:163], v[162:163], v[156:157], v[230:231]
	v_lshlrev_b64 v[156:157], 4, v[178:179]
	v_fma_f64 v[0:1], v[152:153], v[24:25], -v[0:1]
	v_fma_f64 v[24:25], v[154:155], v[24:25], v[232:233]
	v_mul_f64 v[152:153], v[98:99], v[46:47]
	v_mul_f64 v[46:47], v[96:97], v[46:47]
	;; [unrolled: 1-line block ×4, first 2 shown]
	scratch_load_b32 v178, off, off offset:16 ; 4-byte Folded Reload
	v_fma_f64 v[228:229], v[249:250], v[228:229], v[174:175]
	v_mul_f64 v[174:175], v[140:141], v[70:71]
	v_mul_f64 v[230:231], v[146:147], v[58:59]
	;; [unrolled: 1-line block ×3, first 2 shown]
	v_lshlrev_b64 v[70:71], 4, v[182:183]
	v_lshlrev_b64 v[74:75], 4, v[180:181]
	;; [unrolled: 1-line block ×3, first 2 shown]
	v_fma_f64 v[148:149], v[148:149], v[76:77], -v[236:237]
	v_fma_f64 v[76:77], v[150:151], v[76:77], v[78:79]
	s_waitcnt vmcnt(7)
	v_mul_f64 v[78:79], v[106:107], v[30:31]
	v_mul_f64 v[30:31], v[104:105], v[30:31]
	s_waitcnt vmcnt(6)
	v_mul_f64 v[150:151], v[110:111], v[66:67]
	v_mul_f64 v[66:67], v[108:109], v[66:67]
	v_fma_f64 v[140:141], v[140:141], v[68:69], -v[166:167]
	v_fma_f64 v[2:3], v[116:117], v[72:73], -v[2:3]
	s_waitcnt vmcnt(5)
	v_mul_f64 v[116:117], v[90:91], v[62:63]
	v_fma_f64 v[72:73], v[118:119], v[72:73], v[164:165]
	v_mul_f64 v[62:63], v[88:89], v[62:63]
	s_waitcnt vmcnt(4)
	v_mul_f64 v[118:119], v[114:115], v[54:55]
	v_mul_f64 v[54:55], v[112:113], v[54:55]
	v_fma_f64 v[96:97], v[96:97], v[44:45], -v[152:153]
	v_fma_f64 v[44:45], v[98:99], v[44:45], v[46:47]
	v_fma_f64 v[46:47], v[132:133], v[40:41], -v[154:155]
	v_fma_f64 v[40:41], v[134:135], v[40:41], v[42:43]
	;; [unrolled: 2-line block ×4, first 2 shown]
	v_fma_f64 v[68:69], v[142:143], v[68:69], v[174:175]
	s_waitcnt vmcnt(3)
	v_mul_f64 v[142:143], v[94:95], v[50:51]
	v_mul_f64 v[50:51], v[92:93], v[50:51]
	s_waitcnt vmcnt(2) lgkmcnt(1)
	v_mul_f64 v[164:165], v[130:131], v[86:87]
	v_mul_f64 v[86:87], v[128:129], v[86:87]
	v_fma_f64 v[144:145], v[144:145], v[56:57], -v[230:231]
	v_fma_f64 v[56:57], v[146:147], v[56:57], v[243:244]
	v_fma_f64 v[34:35], v[104:105], v[28:29], -v[78:79]
	v_fma_f64 v[28:29], v[106:107], v[28:29], v[30:31]
	;; [unrolled: 2-line block ×3, first 2 shown]
	s_waitcnt vmcnt(1) lgkmcnt(0)
	v_mul_f64 v[146:147], v[122:123], v[82:83]
	v_mul_f64 v[82:83], v[120:121], v[82:83]
	v_add_f64 v[132:133], v[4:5], v[140:141]
	v_add_f64 v[98:99], v[204:205], -v[222:223]
	v_add_f64 v[100:101], v[210:211], v[214:215]
	v_add_f64 v[102:103], v[212:213], v[216:217]
	v_add_f64 v[104:105], v[214:215], -v[210:211]
	v_add_f64 v[106:107], v[216:217], -v[212:213]
	v_add_f64 v[126:127], v[200:201], v[208:209]
	v_add_f64 v[4:5], v[4:5], -v[140:141]
	v_add_co_ci_u32_e64 v175, s0, s9, v239, s0
	v_add_co_u32 v166, s0, 0x1840, v168
	v_fma_f64 v[66:67], v[88:89], v[60:61], -v[116:117]
	scratch_load_b64 v[88:89], off, off offset:48 ; 8-byte Folded Reload
	v_fma_f64 v[60:61], v[90:91], v[60:61], v[62:63]
	v_fma_f64 v[62:63], v[112:113], v[52:53], -v[118:119]
	v_fma_f64 v[52:53], v[114:115], v[52:53], v[54:55]
	s_clause 0x1
	scratch_load_b64 v[114:115], off, off offset:40
	scratch_load_b64 v[112:113], off, off offset:32
	v_add_f64 v[90:91], v[202:203], v[220:221]
	v_add_f64 v[116:117], v[192:193], v[218:219]
	;; [unrolled: 1-line block ×4, first 2 shown]
	v_add_f64 v[118:119], v[190:191], -v[158:159]
	v_add_f64 v[0:1], v[0:1], -v[2:3]
	v_add_f64 v[134:135], v[162:163], v[68:69]
	v_fma_f64 v[54:55], v[92:93], v[48:49], -v[142:143]
	v_fma_f64 v[48:49], v[94:95], v[48:49], v[50:51]
	v_fma_f64 v[50:51], v[128:129], v[84:85], -v[164:165]
	v_fma_f64 v[78:79], v[130:131], v[84:85], v[86:87]
	v_add_f64 v[92:93], v[204:205], v[222:223]
	v_add_f64 v[94:95], v[202:203], -v[220:221]
	v_add_f64 v[128:129], v[206:207], -v[198:199]
	;; [unrolled: 1-line block ×3, first 2 shown]
	v_add_f64 v[24:25], v[124:125], v[148:149]
	v_add_f64 v[72:73], v[22:23], v[76:77]
	v_fma_f64 v[84:85], v[120:121], v[80:81], -v[146:147]
	v_fma_f64 v[80:81], v[122:123], v[80:81], v[82:83]
	v_add_f64 v[82:83], v[6:7], v[224:225]
	v_add_f64 v[6:7], v[6:7], -v[224:225]
	v_add_f64 v[124:125], v[148:149], -v[124:125]
	;; [unrolled: 1-line block ×3, first 2 shown]
	v_add_f64 v[76:77], v[144:145], v[34:35]
	v_add_f64 v[140:141], v[56:57], v[28:29]
	v_add_f64 v[28:29], v[56:57], -v[28:29]
	v_add_f64 v[56:57], v[96:97], v[38:39]
	v_add_f64 v[142:143], v[44:45], v[32:33]
	v_add_f64 v[120:121], v[192:193], -v[218:219]
	v_add_f64 v[130:131], v[208:209], -v[200:201]
	;; [unrolled: 1-line block ×5, first 2 shown]
	v_add_f64 v[44:45], v[46:47], v[42:43]
	v_add_f64 v[96:97], v[40:41], v[36:37]
	v_add_f64 v[42:43], v[42:43], -v[46:47]
	v_add_f64 v[36:37], v[36:37], -v[40:41]
	v_add_f64 v[122:123], v[198:199], v[206:207]
	v_add_f64 v[34:35], v[144:145], -v[34:35]
	v_add_f64 v[150:151], v[106:107], v[98:99]
	v_add_f64 v[154:155], v[106:107], -v[98:99]
	v_add_f64 v[198:199], v[136:137], -v[132:133]
	v_add_co_ci_u32_e64 v167, s0, 0, v175, s0
	v_add_f64 v[192:193], v[138:139], v[134:135]
	v_add_f64 v[200:201], v[138:139], -v[134:135]
	v_add_co_u32 v174, s0, 0x1000, v168
	s_delay_alu instid0(VALU_DEP_1)
	v_add_co_ci_u32_e64 v175, s0, 0, v175, s0
	v_add_f64 v[148:149], v[104:105], v[94:95]
	v_add_f64 v[152:153], v[104:105], -v[94:95]
	v_add_f64 v[182:183], v[128:129], -v[118:119]
	v_lshl_add_u32 v168, v255, 4, 0
	v_add_f64 v[134:135], v[134:135], -v[72:73]
	v_add_f64 v[40:41], v[30:31], v[84:85]
	v_add_f64 v[46:47], v[64:65], v[80:81]
	v_add_f64 v[30:31], v[30:31], -v[84:85]
	v_add_f64 v[64:65], v[64:65], -v[80:81]
	v_add_f64 v[80:81], v[66:67], v[50:51]
	v_add_f64 v[84:85], v[60:61], v[78:79]
	v_add_f64 v[50:51], v[66:67], -v[50:51]
	;; [unrolled: 4-line block ×3, first 2 shown]
	v_add_f64 v[48:49], v[48:49], -v[52:53]
	v_add_f64 v[52:53], v[90:91], v[82:83]
	v_add_f64 v[144:145], v[90:91], -v[82:83]
	v_add_f64 v[82:83], v[82:83], -v[100:101]
	;; [unrolled: 1-line block ×4, first 2 shown]
	v_add_f64 v[202:203], v[124:125], v[0:1]
	v_add_f64 v[210:211], v[56:57], v[76:77]
	;; [unrolled: 1-line block ×4, first 2 shown]
	v_add_f64 v[184:185], v[130:131], -v[120:121]
	v_add_f64 v[204:205], v[22:23], v[2:3]
	v_add_f64 v[206:207], v[124:125], -v[0:1]
	v_add_f64 v[208:209], v[22:23], -v[2:3]
	;; [unrolled: 1-line block ×3, first 2 shown]
	v_add_f64 v[218:219], v[42:43], v[38:39]
	v_add_f64 v[222:223], v[42:43], -v[38:39]
	v_add_f64 v[220:221], v[36:37], v[32:33]
	v_add_f64 v[224:225], v[36:37], -v[32:33]
	v_add_f64 v[138:139], v[72:73], -v[138:139]
	v_add_f64 v[72:73], v[72:73], v[192:193]
	v_add_f64 v[0:1], v[0:1], -v[4:5]
	v_add_f64 v[104:105], v[6:7], -v[104:105]
	;; [unrolled: 1-line block ×16, first 2 shown]
	v_add_f64 v[234:235], v[54:55], v[50:51]
	v_add_f64 v[236:237], v[48:49], v[60:61]
	;; [unrolled: 1-line block ×3, first 2 shown]
	v_add_f64 v[241:242], v[48:49], -v[60:61]
	v_add_f64 v[100:101], v[148:149], v[6:7]
	v_mul_f64 v[6:7], v[82:83], s[24:25]
	v_mul_f64 v[148:149], v[152:153], s[26:27]
	;; [unrolled: 1-line block ×3, first 2 shown]
	v_add_f64 v[44:45], v[44:45], v[210:211]
	v_add_f64 v[96:97], v[96:97], v[212:213]
	v_add_f64 v[238:239], v[54:55], -v[50:51]
	v_add_f64 v[50:51], v[50:51], -v[30:31]
	v_add_f64 v[68:69], v[204:205], v[68:69]
	v_add_f64 v[60:61], v[60:61], -v[64:65]
	v_mul_f64 v[204:205], v[208:209], s[26:27]
	v_mul_f64 v[208:209], v[2:3], s[12:13]
	v_add_f64 v[34:35], v[218:219], v[34:35]
	v_mul_f64 v[218:219], v[222:223], s[26:27]
	v_add_f64 v[48:49], v[64:65], -v[48:49]
	v_add_f64 v[28:29], v[220:221], v[28:29]
	v_mul_f64 v[220:221], v[224:225], s[26:27]
	v_add_f64 v[10:11], v[10:11], v[72:73]
	v_mul_f64 v[192:193], v[138:139], s[10:11]
	v_add_f64 v[54:55], v[30:31], -v[54:55]
	s_waitcnt vmcnt(0)
	s_waitcnt_vscnt null, 0x0
	s_barrier
	buffer_gl0_inv
	v_mul_f64 v[76:77], v[76:77], s[24:25]
	v_mul_f64 v[140:141], v[140:141], s[24:25]
	;; [unrolled: 1-line block ×6, first 2 shown]
	v_add_f64 v[30:31], v[234:235], v[30:31]
	v_add_f64 v[64:65], v[236:237], v[64:65]
	;; [unrolled: 1-line block ×3, first 2 shown]
	v_mul_f64 v[236:237], v[241:242], s[26:27]
	v_fma_f64 v[94:95], v[94:95], s[12:13], -v[148:149]
	v_mul_f64 v[234:235], v[238:239], s[26:27]
	v_mul_f64 v[238:239], v[50:51], s[12:13]
	;; [unrolled: 1-line block ×3, first 2 shown]
	v_fma_f64 v[38:39], v[38:39], s[12:13], -v[218:219]
	v_fma_f64 v[32:33], v[32:33], s[12:13], -v[220:221]
	v_fma_f64 v[72:73], v[72:73], s[4:5], v[10:11]
	v_fma_f64 v[56:57], v[56:57], s[10:11], v[76:77]
	;; [unrolled: 1-line block ×3, first 2 shown]
	v_fma_f64 v[76:77], v[214:215], s[18:19], -v[76:77]
	v_fma_f64 v[140:141], v[216:217], s[18:19], -v[140:141]
	v_fma_f64 v[52:53], v[52:53], s[4:5], v[16:17]
	v_fma_f64 v[60:61], v[60:61], s[12:13], -v[236:237]
	v_fma_f64 v[94:95], v[100:101], s[14:15], v[94:95]
	v_fma_f64 v[50:51], v[50:51], s[12:13], -v[234:235]
	v_lshl_add_u32 v245, v178, 4, 0
	v_add_f64 v[178:179], v[128:129], v[118:119]
	v_add_f64 v[86:87], v[88:89], v[226:227]
	v_add_f64 v[88:89], v[88:89], -v[226:227]
	v_add_f64 v[226:227], v[80:81], v[40:41]
	v_add_f64 v[40:41], v[40:41], -v[66:67]
	v_add_f64 v[110:111], v[114:115], v[228:229]
	v_add_f64 v[108:109], v[112:113], v[26:27]
	v_add_f64 v[26:27], v[112:113], -v[26:27]
	v_add_f64 v[112:113], v[114:115], -v[228:229]
	v_add_f64 v[114:115], v[190:191], v[158:159]
	v_add_f64 v[190:191], v[136:137], v[132:133]
	v_add_f64 v[132:133], v[132:133], -v[24:25]
	v_add_f64 v[228:229], v[84:85], v[46:47]
	v_add_f64 v[136:137], v[24:25], -v[136:137]
	v_add_f64 v[46:47], v[46:47], -v[78:79]
	;; [unrolled: 1-line block ×4, first 2 shown]
	v_add_f64 v[62:63], v[92:93], v[86:87]
	v_add_f64 v[146:147], v[92:93], -v[86:87]
	v_add_f64 v[86:87], v[86:87], -v[102:103]
	v_add_f64 v[92:93], v[102:103], -v[92:93]
	v_add_f64 v[162:163], v[116:117], v[110:111]
	v_add_f64 v[176:177], v[116:117], -v[110:111]
	v_add_f64 v[116:117], v[126:127], -v[116:117]
	v_add_f64 v[118:119], v[118:119], -v[26:27]
	;; [unrolled: 4-line block ×3, first 2 shown]
	v_add_f64 v[108:109], v[108:109], -v[122:123]
	v_add_f64 v[114:115], v[122:123], -v[114:115]
	v_add_f64 v[120:121], v[120:121], -v[112:113]
	v_add_f64 v[24:25], v[24:25], v[190:191]
	v_add_f64 v[106:107], v[88:89], -v[106:107]
	v_add_f64 v[128:129], v[26:27], -v[128:129]
	v_add_f64 v[88:89], v[150:151], v[88:89]
	v_mul_f64 v[150:151], v[154:155], s[26:27]
	v_add_f64 v[26:27], v[178:179], v[26:27]
	v_mul_f64 v[178:179], v[182:183], s[26:27]
	;; [unrolled: 2-line block ×3, first 2 shown]
	v_add_f64 v[130:131], v[112:113], -v[130:131]
	v_add_f64 v[112:113], v[180:181], v[112:113]
	v_mul_f64 v[180:181], v[184:185], s[26:27]
	v_mul_f64 v[202:203], v[206:207], s[26:27]
	v_add_f64 v[66:67], v[66:67], v[226:227]
	v_add_f64 v[78:79], v[78:79], v[228:229]
	v_mul_f64 v[132:133], v[134:135], s[24:25]
	v_mul_f64 v[134:135], v[136:137], s[10:11]
	;; [unrolled: 1-line block ×7, first 2 shown]
	v_add_f64 v[62:63], v[102:103], v[62:63]
	v_mul_f64 v[82:83], v[86:87], s[24:25]
	v_mul_f64 v[86:87], v[90:91], s[10:11]
	v_add_f64 v[126:127], v[126:127], v[162:163]
	v_mul_f64 v[102:103], v[92:93], s[10:11]
	v_mul_f64 v[162:163], v[116:117], s[10:11]
	;; [unrolled: 1-line block ×3, first 2 shown]
	v_add_f64 v[122:123], v[122:123], v[158:159]
	v_mul_f64 v[154:155], v[98:99], s[12:13]
	v_mul_f64 v[110:111], v[110:111], s[24:25]
	v_fma_f64 v[90:91], v[90:91], s[10:11], v[6:7]
	v_mul_f64 v[108:109], v[108:109], s[24:25]
	v_mul_f64 v[158:159], v[114:115], s[10:11]
	v_mul_f64 v[184:185], v[120:121], s[12:13]
	v_add_f64 v[8:9], v[8:9], v[24:25]
	v_fma_f64 v[243:244], v[106:107], s[20:21], v[150:151]
	v_fma_f64 v[98:99], v[98:99], s[12:13], -v[150:151]
	v_fma_f64 v[118:119], v[118:119], s[12:13], -v[178:179]
	v_fma_f64 v[136:137], v[136:137], s[10:11], v[4:5]
	v_fma_f64 v[120:121], v[120:121], s[12:13], -v[180:181]
	v_fma_f64 v[138:139], v[138:139], s[10:11], v[132:133]
	v_fma_f64 v[134:135], v[198:199], s[16:17], -v[134:135]
	v_fma_f64 v[132:133], v[200:201], s[18:19], -v[132:133]
	v_fma_f64 v[80:81], v[80:81], s[10:11], v[40:41]
	v_fma_f64 v[84:85], v[84:85], s[10:11], v[46:47]
	v_fma_f64 v[40:41], v[230:231], s[18:19], -v[40:41]
	v_fma_f64 v[46:47], v[232:233], s[18:19], -v[46:47]
	v_add_f64 v[18:19], v[18:19], v[62:63]
	v_fma_f64 v[92:93], v[92:93], s[10:11], v[82:83]
	v_fma_f64 v[86:87], v[144:145], s[16:17], -v[86:87]
	v_add_f64 v[14:15], v[14:15], v[126:127]
	v_fma_f64 v[102:103], v[146:147], s[16:17], -v[102:103]
	v_fma_f64 v[144:145], v[144:145], s[18:19], -v[6:7]
	;; [unrolled: 1-line block ×3, first 2 shown]
	v_add_f64 v[12:13], v[12:13], v[122:123]
	v_fma_f64 v[146:147], v[104:105], s[20:21], v[148:149]
	v_fma_f64 v[104:105], v[104:105], s[22:23], -v[152:153]
	v_fma_f64 v[150:151], v[176:177], s[16:17], -v[162:163]
	v_fma_f64 v[152:153], v[128:129], s[20:21], v[178:179]
	v_fma_f64 v[128:129], v[128:129], s[22:23], -v[182:183]
	v_fma_f64 v[162:163], v[198:199], s[18:19], -v[4:5]
	v_add_f64 v[4:5], v[194:195], v[44:45]
	v_add_f64 v[6:7], v[196:197], v[96:97]
	v_fma_f64 v[106:107], v[106:107], s[22:23], -v[154:155]
	v_fma_f64 v[116:117], v[116:117], s[10:11], v[110:111]
	v_fma_f64 v[110:111], v[176:177], s[18:19], -v[110:111]
	v_fma_f64 v[154:155], v[130:131], s[20:21], v[180:181]
	v_fma_f64 v[176:177], v[22:23], s[20:21], v[204:205]
	v_fma_f64 v[178:179], v[0:1], s[12:13], -v[202:203]
	v_fma_f64 v[180:181], v[2:3], s[12:13], -v[204:205]
	;; [unrolled: 1-line block ×3, first 2 shown]
	v_add_f64 v[0:1], v[186:187], v[66:67]
	v_add_f64 v[2:3], v[188:189], v[78:79]
	v_fma_f64 v[114:115], v[114:115], s[10:11], v[108:109]
	v_fma_f64 v[108:109], v[164:165], s[18:19], -v[108:109]
	v_fma_f64 v[130:131], v[130:131], s[22:23], -v[184:185]
	;; [unrolled: 1-line block ×3, first 2 shown]
	v_fma_f64 v[194:195], v[36:37], s[20:21], v[220:221]
	v_fma_f64 v[198:199], v[48:49], s[20:21], v[236:237]
	;; [unrolled: 1-line block ×4, first 2 shown]
	v_fma_f64 v[158:159], v[200:201], s[16:17], -v[192:193]
	v_fma_f64 v[124:125], v[124:125], s[22:23], -v[206:207]
	v_fma_f64 v[192:193], v[42:43], s[20:21], v[218:219]
	v_fma_f64 v[62:63], v[62:63], s[4:5], v[18:19]
	v_fma_f64 v[118:119], v[26:27], s[14:15], v[118:119]
	v_fma_f64 v[42:43], v[42:43], s[22:23], -v[222:223]
	v_fma_f64 v[36:37], v[36:37], s[22:23], -v[224:225]
	v_fma_f64 v[126:127], v[126:127], s[4:5], v[14:15]
	v_fma_f64 v[182:183], v[214:215], s[16:17], -v[210:211]
	v_fma_f64 v[184:185], v[216:217], s[16:17], -v[212:213]
	v_fma_f64 v[196:197], v[54:55], s[20:21], v[234:235]
	v_fma_f64 v[122:123], v[122:123], s[4:5], v[12:13]
	;; [unrolled: 1-line block ×11, first 2 shown]
	v_fma_f64 v[186:187], v[230:231], s[16:17], -v[226:227]
	v_fma_f64 v[188:189], v[232:233], s[16:17], -v[228:229]
	v_fma_f64 v[106:107], v[112:113], s[14:15], v[154:155]
	v_fma_f64 v[152:153], v[68:69], s[14:15], v[176:177]
	v_fma_f64 v[54:55], v[54:55], s[22:23], -v[238:239]
	v_fma_f64 v[154:155], v[68:69], s[14:15], v[180:181]
	v_fma_f64 v[68:69], v[68:69], s[14:15], v[22:23]
	;; [unrolled: 1-line block ×4, first 2 shown]
	v_fma_f64 v[48:49], v[48:49], s[22:23], -v[241:242]
	v_add_f64 v[78:79], v[90:91], v[52:53]
	v_fma_f64 v[96:97], v[190:191], s[14:15], v[178:179]
	v_fma_f64 v[178:179], v[34:35], s[14:15], v[38:39]
	v_add_f64 v[38:39], v[144:145], v[52:53]
	v_add_f64 v[52:53], v[86:87], v[52:53]
	v_fma_f64 v[120:121], v[112:113], s[14:15], v[120:121]
	v_fma_f64 v[112:113], v[112:113], s[14:15], v[130:131]
	;; [unrolled: 1-line block ×5, first 2 shown]
	v_add_f64 v[90:91], v[92:93], v[62:63]
	v_add_f64 v[82:83], v[82:83], v[62:63]
	;; [unrolled: 1-line block ×3, first 2 shown]
	v_fma_f64 v[130:131], v[190:191], s[14:15], v[164:165]
	v_add_f64 v[92:93], v[116:117], v[126:127]
	v_add_f64 v[116:117], v[138:139], v[72:73]
	v_fma_f64 v[124:125], v[190:191], s[14:15], v[124:125]
	v_fma_f64 v[164:165], v[34:35], s[14:15], v[192:193]
	v_add_f64 v[86:87], v[114:115], v[122:123]
	v_add_f64 v[102:103], v[108:109], v[122:123]
	;; [unrolled: 1-line block ×12, first 2 shown]
	v_fma_f64 v[144:145], v[34:35], s[14:15], v[42:43]
	v_fma_f64 v[190:191], v[28:29], s[14:15], v[36:37]
	v_add_f64 v[158:159], v[76:77], v[26:27]
	v_add_f64 v[140:141], v[140:141], v[44:45]
	v_fma_f64 v[180:181], v[28:29], s[14:15], v[32:33]
	v_add_f64 v[138:139], v[182:183], v[26:27]
	v_add_f64 v[142:143], v[184:185], v[44:45]
	;; [unrolled: 3-line block ×3, first 2 shown]
	v_fma_f64 v[148:149], v[30:31], s[14:15], v[54:55]
	v_fma_f64 v[150:151], v[64:65], s[14:15], v[48:49]
	v_add_f64 v[184:185], v[186:187], v[22:23]
	v_add_f64 v[186:187], v[188:189], v[66:67]
	;; [unrolled: 1-line block ×4, first 2 shown]
	v_fma_f64 v[196:197], v[30:31], s[14:15], v[50:51]
	v_add_f64 v[22:23], v[200:201], v[78:79]
	v_add_f64 v[24:25], v[90:91], -v[146:147]
	v_add_f64 v[26:27], v[88:89], v[38:39]
	v_add_f64 v[28:29], v[82:83], -v[100:101]
	v_add_f64 v[30:31], v[52:53], -v[98:99]
	v_add_f64 v[32:33], v[94:95], v[62:63]
	v_add_f64 v[34:35], v[98:99], v[52:53]
	v_add_f64 v[36:37], v[62:63], -v[94:95]
	v_add_f64 v[38:39], v[38:39], -v[88:89]
	v_add_f64 v[40:41], v[100:101], v[82:83]
	v_add_f64 v[42:43], v[78:79], -v[200:201]
	v_add_f64 v[44:45], v[146:147], v[90:91]
	v_add_f64 v[46:47], v[106:107], v[86:87]
	v_add_f64 v[48:49], v[92:93], -v[104:105]
	v_add_f64 v[50:51], v[112:113], v[102:103]
	v_add_f64 v[52:53], v[108:109], -v[128:129]
	v_add_f64 v[54:55], v[60:61], -v[120:121]
	v_add_f64 v[56:57], v[118:119], v[110:111]
	v_add_f64 v[60:61], v[120:121], v[60:61]
	v_add_f64 v[62:63], v[110:111], -v[118:119]
	v_add_f64 v[64:65], v[102:103], -v[112:113]
	v_add_f64 v[66:67], v[128:129], v[108:109]
	v_add_f64 v[76:77], v[86:87], -v[106:107]
	v_add_f64 v[78:79], v[104:105], v[92:93]
	;; [unrolled: 12-line block ×5, first 2 shown]
	ds_store_b128 v240, v[16:19]
	ds_store_b128 v240, v[22:25] offset:896
	ds_store_b128 v240, v[26:29] offset:1792
	;; [unrolled: 1-line block ×34, first 2 shown]
	v_add_co_u32 v2, s0, s8, v160
	s_delay_alu instid0(VALU_DEP_1) | instskip(SKIP_1) | instid1(VALU_DEP_1)
	v_add_co_ci_u32_e64 v3, s0, s9, v161, s0
	v_add_co_u32 v38, s0, s8, v156
	v_add_co_ci_u32_e64 v39, s0, s9, v157, s0
	s_delay_alu instid0(VALU_DEP_4) | instskip(NEXT) | instid1(VALU_DEP_1)
	v_add_co_u32 v0, s0, 0x1000, v2
	v_add_co_ci_u32_e64 v1, s0, 0, v3, s0
	v_add_co_u32 v2, s0, 0x1840, v2
	s_delay_alu instid0(VALU_DEP_1)
	v_add_co_ci_u32_e64 v3, s0, 0, v3, s0
	s_waitcnt lgkmcnt(0)
	s_barrier
	buffer_gl0_inv
	s_clause 0x6
	global_load_b128 v[4:7], v[174:175], off offset:2112
	global_load_b128 v[8:11], v[166:167], off offset:32
	;; [unrolled: 1-line block ×7, first 2 shown]
	v_add_co_u32 v50, s0, s8, v74
	s_delay_alu instid0(VALU_DEP_1) | instskip(SKIP_1) | instid1(VALU_DEP_1)
	v_add_co_ci_u32_e64 v51, s0, s9, v75, s0
	v_add_co_u32 v68, s0, s8, v70
	v_add_co_ci_u32_e64 v69, s0, s9, v71, s0
	v_add_co_u32 v72, s0, s8, v58
	s_delay_alu instid0(VALU_DEP_1) | instskip(SKIP_1) | instid1(VALU_DEP_1)
	v_add_co_ci_u32_e64 v73, s0, s9, v59, s0
	v_add_co_u32 v0, s0, 0x1840, v38
	v_add_co_ci_u32_e64 v1, s0, 0, v39, s0
	global_load_b128 v[34:37], v[2:3], off offset:48
	v_add_co_u32 v2, s0, 0x1000, v38
	s_delay_alu instid0(VALU_DEP_1) | instskip(SKIP_1) | instid1(VALU_DEP_1)
	v_add_co_ci_u32_e64 v3, s0, 0, v39, s0
	v_add_co_u32 v66, s0, 0x1840, v50
	v_add_co_ci_u32_e64 v67, s0, 0, v51, s0
	s_clause 0x2
	global_load_b128 v[38:41], v[2:3], off offset:2112
	global_load_b128 v[42:45], v[0:1], off offset:32
	;; [unrolled: 1-line block ×3, first 2 shown]
	v_add_co_u32 v2, s0, 0x1000, v50
	s_delay_alu instid0(VALU_DEP_1) | instskip(SKIP_2) | instid1(VALU_DEP_1)
	v_add_co_ci_u32_e64 v3, s0, 0, v51, s0
	global_load_b128 v[50:53], v[0:1], off offset:48
	v_add_co_u32 v0, s0, 0x1840, v68
	v_add_co_ci_u32_e64 v1, s0, 0, v69, s0
	s_clause 0x2
	global_load_b128 v[54:57], v[2:3], off offset:2112
	global_load_b128 v[58:61], v[66:67], off offset:32
	;; [unrolled: 1-line block ×3, first 2 shown]
	v_add_co_u32 v2, s0, 0x1000, v68
	s_delay_alu instid0(VALU_DEP_1)
	v_add_co_ci_u32_e64 v3, s0, 0, v69, s0
	s_clause 0x3
	global_load_b128 v[66:69], v[66:67], off offset:48
	global_load_b128 v[74:77], v[2:3], off offset:2112
	;; [unrolled: 1-line block ×4, first 2 shown]
	v_add_co_u32 v70, s0, 0x1840, v72
	s_delay_alu instid0(VALU_DEP_1) | instskip(SKIP_1) | instid1(VALU_DEP_1)
	v_add_co_ci_u32_e64 v71, s0, 0, v73, s0
	v_add_co_u32 v2, s0, 0x1000, v72
	v_add_co_ci_u32_e64 v3, s0, 0, v73, s0
	v_add_co_u32 v20, s0, s8, v20
	s_delay_alu instid0(VALU_DEP_1) | instskip(SKIP_2) | instid1(VALU_DEP_1)
	v_add_co_ci_u32_e64 v21, s0, s9, v21, s0
	global_load_b128 v[104:107], v[0:1], off offset:48
	v_add_co_u32 v0, s0, 0x1000, v20
	v_add_co_ci_u32_e64 v1, s0, 0, v21, s0
	s_clause 0x2
	global_load_b128 v[108:111], v[2:3], off offset:2112
	global_load_b128 v[112:115], v[70:71], off offset:32
	;; [unrolled: 1-line block ×3, first 2 shown]
	v_add_co_u32 v2, s0, 0x1840, v20
	s_delay_alu instid0(VALU_DEP_1)
	v_add_co_ci_u32_e64 v3, s0, 0, v21, s0
	s_clause 0x4
	global_load_b128 v[120:123], v[70:71], off offset:48
	global_load_b128 v[124:127], v[0:1], off offset:2112
	;; [unrolled: 1-line block ×5, first 2 shown]
	ds_load_b128 v[70:73], v240 offset:6272
	ds_load_b128 v[78:81], v240 offset:12544
	;; [unrolled: 1-line block ×7, first 2 shown]
	s_mov_b32 s10, 0x134454ff
	s_mov_b32 s11, 0x3fee6f0e
	;; [unrolled: 1-line block ×10, first 2 shown]
	s_waitcnt lgkmcnt(1)
	scratch_store_b128 off, v[0:3], off offset:16 ; 16-byte Folded Spill
	ds_load_b128 v[144:147], v240 offset:25984
	ds_load_b128 v[148:151], v240 offset:17920
	;; [unrolled: 1-line block ×5, first 2 shown]
	s_waitcnt vmcnt(26)
	v_mul_f64 v[234:235], v[88:89], v[10:11]
	v_mul_f64 v[98:99], v[72:73], v[6:7]
	;; [unrolled: 1-line block ×3, first 2 shown]
	s_waitcnt vmcnt(25)
	v_mul_f64 v[230:231], v[80:81], v[14:15]
	v_mul_f64 v[14:15], v[78:79], v[14:15]
	;; [unrolled: 1-line block ×3, first 2 shown]
	s_waitcnt vmcnt(24)
	v_mul_f64 v[236:237], v[92:93], v[18:19]
	v_mul_f64 v[238:239], v[90:91], v[18:19]
	s_waitcnt vmcnt(23)
	v_mul_f64 v[241:242], v[96:97], v[24:25]
	s_waitcnt vmcnt(21) lgkmcnt(5)
	v_mul_f64 v[243:244], v[142:143], v[32:33]
	v_mul_f64 v[32:33], v[140:141], v[32:33]
	s_waitcnt lgkmcnt(1)
	v_mul_f64 v[245:246], v[158:159], v[28:29]
	v_mul_f64 v[28:29], v[156:157], v[28:29]
	ds_load_b128 v[18:21], v240 offset:14336
	ds_load_b128 v[164:167], v240 offset:15232
	ds_load_b128 v[174:177], v240 offset:26880
	ds_load_b128 v[178:181], v240 offset:27776
	ds_load_b128 v[182:185], v240 offset:8960
	ds_load_b128 v[186:189], v240 offset:9856
	ds_load_b128 v[190:193], v240 offset:21504
	ds_load_b128 v[194:197], v240 offset:22400
	ds_load_b128 v[198:201], v240 offset:16128
	ds_load_b128 v[202:205], v240 offset:17024
	ds_load_b128 v[206:209], v240 offset:28672
	ds_load_b128 v[210:213], v240 offset:29568
	v_mul_f64 v[24:25], v[94:95], v[24:25]
	ds_load_b128 v[214:217], v240 offset:10752
	ds_load_b128 v[218:221], v240 offset:11648
	;; [unrolled: 1-line block ×4, first 2 shown]
	s_waitcnt vmcnt(20)
	v_mul_f64 v[247:248], v[146:147], v[36:37]
	v_mul_f64 v[36:37], v[144:145], v[36:37]
	v_fma_f64 v[234:235], v[86:87], v[8:9], -v[234:235]
	v_fma_f64 v[249:250], v[70:71], v[4:5], -v[98:99]
	v_fma_f64 v[251:252], v[72:73], v[4:5], v[6:7]
	v_fma_f64 v[253:254], v[78:79], v[12:13], -v[230:231]
	v_fma_f64 v[70:71], v[80:81], v[12:13], v[14:15]
	s_waitcnt vmcnt(19)
	v_mul_f64 v[4:5], v[154:155], v[40:41]
	v_mul_f64 v[6:7], v[152:153], v[40:41]
	v_fma_f64 v[40:41], v[88:89], v[8:9], v[10:11]
	s_waitcnt vmcnt(17) lgkmcnt(15)
	v_mul_f64 v[8:9], v[20:21], v[48:49]
	v_mul_f64 v[10:11], v[18:19], v[48:49]
	;; [unrolled: 1-line block ×4, first 2 shown]
	v_fma_f64 v[78:79], v[90:91], v[16:17], -v[236:237]
	v_fma_f64 v[80:81], v[92:93], v[16:17], v[238:239]
	s_waitcnt vmcnt(16) lgkmcnt(13)
	v_mul_f64 v[16:17], v[176:177], v[52:53]
	v_mul_f64 v[44:45], v[174:175], v[52:53]
	s_waitcnt vmcnt(15) lgkmcnt(11)
	v_mul_f64 v[48:49], v[184:185], v[56:57]
	v_mul_f64 v[52:53], v[182:183], v[56:57]
	v_fma_f64 v[236:237], v[94:95], v[22:23], -v[241:242]
	s_waitcnt vmcnt(13)
	v_mul_f64 v[56:57], v[164:165], v[64:65]
	s_waitcnt lgkmcnt(9)
	v_mul_f64 v[90:91], v[190:191], v[60:61]
	v_fma_f64 v[241:242], v[140:141], v[30:31], -v[243:244]
	v_fma_f64 v[243:244], v[142:143], v[30:31], v[32:33]
	s_waitcnt vmcnt(12)
	v_mul_f64 v[30:31], v[180:181], v[68:69]
	v_mul_f64 v[32:33], v[178:179], v[68:69]
	s_waitcnt vmcnt(11)
	v_mul_f64 v[68:69], v[188:189], v[76:77]
	v_mul_f64 v[76:77], v[186:187], v[76:77]
	v_fma_f64 v[156:157], v[156:157], v[26:27], -v[245:246]
	v_fma_f64 v[158:159], v[158:159], v[26:27], v[28:29]
	s_waitcnt vmcnt(9) lgkmcnt(7)
	v_mul_f64 v[26:27], v[200:201], v[102:103]
	v_fma_f64 v[238:239], v[96:97], v[22:23], v[24:25]
	v_mul_f64 v[24:25], v[166:167], v[64:65]
	v_mul_f64 v[64:65], v[192:193], v[60:61]
	;; [unrolled: 1-line block ×4, first 2 shown]
	ds_load_b128 v[230:233], v240 offset:30464
	v_fma_f64 v[86:87], v[144:145], v[34:35], -v[247:248]
	v_fma_f64 v[88:89], v[146:147], v[34:35], v[36:37]
	s_waitcnt vmcnt(7) lgkmcnt(4)
	v_mul_f64 v[146:147], v[216:217], v[110:111]
	v_mul_f64 v[247:248], v[214:215], v[110:111]
	s_waitcnt vmcnt(4)
	v_mul_f64 v[110:111], v[212:213], v[122:123]
	v_mul_f64 v[122:123], v[210:211], v[122:123]
	v_mul_f64 v[245:246], v[198:199], v[102:103]
	v_fma_f64 v[152:153], v[152:153], v[38:39], -v[4:5]
	v_fma_f64 v[154:155], v[154:155], v[38:39], v[6:7]
	v_mul_f64 v[34:35], v[208:209], v[106:107]
	v_fma_f64 v[36:37], v[18:19], v[46:47], -v[8:9]
	v_fma_f64 v[46:47], v[20:21], v[46:47], v[10:11]
	v_fma_f64 v[160:161], v[160:161], v[42:43], -v[12:13]
	v_fma_f64 v[162:163], v[162:163], v[42:43], v[14:15]
	ds_load_b128 v[140:143], v240
	ds_load_b128 v[20:23], v240 offset:896
	v_mul_f64 v[144:145], v[206:207], v[106:107]
	v_fma_f64 v[92:93], v[174:175], v[50:51], -v[16:17]
	v_fma_f64 v[94:95], v[176:177], v[50:51], v[44:45]
	s_waitcnt vmcnt(1) lgkmcnt(3)
	v_mul_f64 v[174:175], v[228:229], v[134:135]
	v_mul_f64 v[176:177], v[226:227], v[134:135]
	ds_load_b128 v[16:19], v240 offset:1792
	ds_load_b128 v[12:15], v240 offset:2688
	v_fma_f64 v[134:135], v[166:167], v[62:63], v[56:57]
	v_fma_f64 v[166:167], v[192:193], v[58:59], v[90:91]
	ds_load_b128 v[8:11], v240 offset:3584
	ds_load_b128 v[4:7], v240 offset:4480
	v_mul_f64 v[38:39], v[204:205], v[118:119]
	v_mul_f64 v[118:119], v[202:203], v[118:119]
	v_fma_f64 v[44:45], v[180:181], v[66:67], v[32:33]
	v_fma_f64 v[90:91], v[186:187], v[74:75], -v[68:69]
	v_fma_f64 v[84:85], v[188:189], v[74:75], v[76:77]
	v_mul_f64 v[106:107], v[224:225], v[114:115]
	v_mul_f64 v[114:115], v[222:223], v[114:115]
	v_fma_f64 v[74:75], v[198:199], v[100:101], -v[26:27]
	v_add_f64 v[26:27], v[249:250], -v[253:254]
	v_mul_f64 v[42:43], v[150:151], v[130:131]
	v_fma_f64 v[56:57], v[178:179], v[66:67], -v[30:31]
	v_mul_f64 v[102:103], v[220:221], v[126:127]
	v_mul_f64 v[126:127], v[218:219], v[126:127]
	;; [unrolled: 1-line block ×3, first 2 shown]
	v_fma_f64 v[98:99], v[182:183], v[54:55], -v[48:49]
	v_fma_f64 v[96:97], v[184:185], v[54:55], v[52:53]
	s_waitcnt vmcnt(0) lgkmcnt(6)
	v_mul_f64 v[52:53], v[232:233], v[138:139]
	v_mul_f64 v[182:183], v[230:231], v[138:139]
	v_fma_f64 v[72:73], v[164:165], v[62:63], -v[24:25]
	v_fma_f64 v[30:31], v[212:213], v[120:121], v[122:123]
	v_fma_f64 v[138:139], v[190:191], v[58:59], -v[64:65]
	v_fma_f64 v[58:59], v[200:201], v[100:101], v[245:246]
	;; [unrolled: 2-line block ×4, first 2 shown]
	s_waitcnt lgkmcnt(5)
	v_add_f64 v[60:61], v[142:143], v[251:252]
	s_waitcnt lgkmcnt(4)
	v_add_f64 v[108:109], v[20:21], v[236:237]
	v_fma_f64 v[62:63], v[206:207], v[104:105], -v[34:35]
	v_fma_f64 v[28:29], v[208:209], v[104:105], v[144:145]
	v_fma_f64 v[54:55], v[210:211], v[120:121], -v[110:111]
	v_add_f64 v[32:33], v[70:71], -v[40:41]
	v_fma_f64 v[170:171], v[226:227], v[132:133], -v[174:175]
	v_fma_f64 v[34:35], v[228:229], v[132:133], v[176:177]
	v_add_f64 v[132:133], v[70:71], v[40:41]
	v_add_f64 v[180:181], v[70:71], -v[251:252]
	v_add_f64 v[174:175], v[241:242], v[156:157]
	v_add_f64 v[188:189], v[156:157], -v[86:87]
	v_fma_f64 v[68:69], v[202:203], v[116:117], -v[38:39]
	v_fma_f64 v[66:67], v[204:205], v[116:117], v[118:119]
	s_waitcnt lgkmcnt(3)
	v_add_f64 v[116:117], v[18:19], v[154:155]
	v_add_f64 v[118:119], v[40:41], -v[80:81]
	v_add_f64 v[194:195], v[241:242], -v[156:157]
	v_fma_f64 v[24:25], v[222:223], v[112:113], -v[106:107]
	v_fma_f64 v[64:65], v[224:225], v[112:113], v[114:115]
	v_add_f64 v[114:115], v[16:17], v[152:153]
	scratch_store_b64 off, v[26:27], off offset:32 ; 8-byte Folded Spill
	v_add_f64 v[26:27], v[78:79], -v[234:235]
	v_fma_f64 v[106:107], v[148:149], v[128:129], -v[42:43]
	v_add_f64 v[42:43], v[140:141], v[249:250]
	v_fma_f64 v[102:103], v[218:219], v[124:125], -v[102:103]
	v_fma_f64 v[0:1], v[220:221], v[124:125], v[126:127]
	v_fma_f64 v[104:105], v[150:151], v[128:129], v[50:51]
	v_add_f64 v[112:113], v[253:254], v[234:235]
	v_add_f64 v[124:125], v[249:250], v[78:79]
	;; [unrolled: 1-line block ×3, first 2 shown]
	v_fma_f64 v[48:49], v[230:231], v[136:137], -v[52:53]
	v_fma_f64 v[172:173], v[232:233], v[136:137], v[182:183]
	v_add_f64 v[136:137], v[249:250], -v[78:79]
	v_add_f64 v[126:127], v[80:81], -v[40:41]
	;; [unrolled: 1-line block ×3, first 2 shown]
	v_add_f64 v[204:205], v[36:37], v[160:161]
	v_add_f64 v[206:207], v[154:155], -v[94:95]
	v_add_f64 v[208:209], v[46:47], -v[162:163]
	v_add_f64 v[60:61], v[60:61], v[70:71]
	v_add_f64 v[108:109], v[108:109], v[241:242]
	v_add_f64 v[212:213], v[92:93], -v[160:161]
	v_add_f64 v[214:215], v[152:153], v[92:93]
	v_add_f64 v[216:217], v[36:37], -v[152:153]
	v_add_f64 v[218:219], v[160:161], -v[92:93]
	v_add_f64 v[220:221], v[46:47], v[162:163]
	v_add_f64 v[222:223], v[154:155], -v[46:47]
	;; [unrolled: 3-line block ×4, first 2 shown]
	v_add_f64 v[116:117], v[116:117], v[46:47]
	v_add_f64 v[46:47], v[46:47], -v[154:155]
	v_add_f64 v[154:155], v[162:163], -v[94:95]
	v_add_f64 v[110:111], v[22:23], v[238:239]
	v_mov_b32_e32 v123, v57
	v_add_f64 v[114:115], v[114:115], v[36:37]
	v_mov_b32_e32 v122, v56
	s_clause 0x1
	scratch_store_b64 off, v[26:27], off offset:40
	scratch_store_b64 off, v[30:31], off offset:112
	v_add_f64 v[26:27], v[253:254], -v[249:250]
	v_add_f64 v[42:43], v[42:43], v[253:254]
	v_add_f64 v[178:179], v[243:244], -v[158:159]
	v_add_f64 v[190:191], v[243:244], v[158:159]
	v_add_f64 v[210:211], v[238:239], -v[243:244]
	v_fma_f64 v[124:125], v[124:125], -0.5, v[140:141]
	v_add_f64 v[200:201], v[243:244], -v[238:239]
	v_add_f64 v[230:231], v[72:73], v[138:139]
	v_add_f64 v[247:248], v[96:97], v[44:45]
	v_add_f64 v[196:197], v[88:89], -v[158:159]
	v_add_f64 v[202:203], v[158:159], -v[88:89]
	v_fma_f64 v[174:175], v[174:175], -0.5, v[20:21]
	v_fma_f64 v[204:205], v[204:205], -0.5, v[16:17]
	v_add_f64 v[56:57], v[102:103], v[48:49]
	v_add_f64 v[168:169], v[104:105], v[34:35]
	;; [unrolled: 1-line block ×3, first 2 shown]
	v_fma_f64 v[60:61], v[112:113], -0.5, v[140:141]
	v_fma_f64 v[112:113], v[132:133], -0.5, v[142:143]
	v_add_f64 v[108:109], v[108:109], v[156:157]
	v_add_f64 v[156:157], v[74:75], v[100:101]
	v_fma_f64 v[140:141], v[150:151], -0.5, v[142:143]
	v_add_f64 v[142:143], v[66:67], v[64:65]
	v_add_f64 v[150:151], v[76:77], v[30:31]
	v_fma_f64 v[214:215], v[214:215], -0.5, v[16:17]
	v_dual_mov_b32 v17, v1 :: v_dual_mov_b32 v16, v0
	s_waitcnt lgkmcnt(2)
	v_add_f64 v[228:229], v[12:13], v[98:99]
	v_fma_f64 v[184:185], v[184:185], -0.5, v[20:21]
	v_add_f64 v[20:21], v[106:107], v[170:171]
	v_add_f64 v[116:117], v[116:117], v[162:163]
	;; [unrolled: 1-line block ×8, first 2 shown]
	v_fma_f64 v[220:221], v[220:221], -0.5, v[18:19]
	v_fma_f64 v[226:227], v[226:227], -0.5, v[18:19]
	scratch_store_b64 off, v[26:27], off offset:48 ; 8-byte Folded Spill
	v_add_f64 v[26:27], v[251:252], -v[70:71]
	v_add_f64 v[70:71], v[152:153], -v[36:37]
	v_add_f64 v[42:43], v[42:43], v[234:235]
	v_add_f64 v[128:129], v[234:235], -v[78:79]
	v_add_f64 v[245:246], v[58:59], v[164:165]
	v_add_f64 v[144:145], v[253:254], -v[234:235]
	v_fma_f64 v[230:231], v[230:231], -0.5, v[12:13]
	v_fma_f64 v[247:248], v[247:248], -0.5, v[14:15]
	v_add_f64 v[198:199], v[238:239], v[88:89]
	v_add_f64 v[253:254], v[84:85], v[28:29]
	v_add_f64 v[130:131], v[96:97], -v[44:45]
	v_fma_f64 v[190:191], v[190:191], -0.5, v[22:23]
	v_add_f64 v[176:177], v[238:239], -v[88:89]
	v_add_f64 v[238:239], v[98:99], -v[72:73]
	v_add_f64 v[234:235], v[40:41], v[80:81]
	v_add_f64 v[80:81], v[134:135], -v[96:97]
	v_fma_f64 v[40:41], v[38:39], s[10:11], v[60:61]
	v_fma_f64 v[60:61], v[38:39], s[12:13], v[60:61]
	v_add_f64 v[52:53], v[122:123], -v[138:139]
	v_add_f64 v[146:147], v[72:73], -v[98:99]
	s_waitcnt lgkmcnt(0)
	v_fma_f64 v[142:143], v[142:143], -0.5, v[6:7]
	v_fma_f64 v[150:151], v[150:151], -0.5, v[6:7]
	v_add_f64 v[148:149], v[138:139], -v[122:123]
	v_add_f64 v[2:3], v[72:73], -v[138:139]
	v_add_f64 v[222:223], v[222:223], v[224:225]
	v_add_f64 v[224:225], v[82:83], -v[68:69]
	v_add_f64 v[46:47], v[46:47], v[154:155]
	v_add_f64 v[216:217], v[216:217], v[218:219]
	;; [unrolled: 1-line block ×3, first 2 shown]
	v_fma_f64 v[94:95], v[156:157], -0.5, v[8:9]
	v_fma_f64 v[116:117], v[162:163], -0.5, v[4:5]
	v_add_f64 v[156:157], v[6:7], v[76:77]
	v_add_f64 v[110:111], v[110:111], v[158:159]
	;; [unrolled: 1-line block ×4, first 2 shown]
	v_fma_f64 v[120:121], v[243:244], -0.5, v[12:13]
	v_add_f64 v[218:219], v[66:67], -v[64:65]
	scratch_store_b64 off, v[26:27], off offset:56 ; 8-byte Folded Spill
	v_add_f64 v[26:27], v[241:242], -v[236:237]
	v_add_f64 v[232:233], v[42:43], v[78:79]
	v_fma_f64 v[42:43], v[136:137], s[12:13], v[112:113]
	v_add_f64 v[241:242], v[108:109], v[86:87]
	v_fma_f64 v[86:87], v[136:137], s[10:11], v[112:113]
	v_add_f64 v[112:113], v[4:5], v[82:83]
	v_add_f64 v[236:237], v[134:135], -v[166:167]
	v_fma_f64 v[198:199], v[198:199], -0.5, v[22:23]
	v_add_f64 v[22:23], v[10:11], v[84:85]
	v_fma_f64 v[40:41], v[32:33], s[4:5], v[40:41]
	v_fma_f64 v[60:61], v[32:33], s[8:9], v[60:61]
	v_add_f64 v[238:239], v[238:239], v[52:53]
	v_add_f64 v[52:53], v[146:147], v[148:149]
	;; [unrolled: 1-line block ×4, first 2 shown]
	v_fma_f64 v[110:111], v[253:254], -0.5, v[10:11]
	v_fma_f64 v[18:19], v[158:159], -0.5, v[8:9]
	scratch_store_b64 off, v[26:27], off offset:64 ; 8-byte Folded Spill
	v_add_f64 v[26:27], v[152:153], -v[92:93]
	v_add_f64 v[152:153], v[36:37], -v[160:161]
	v_add_f64 v[160:161], v[68:69], v[24:25]
	v_add_f64 v[92:93], v[8:9], v[90:91]
	v_add_f64 v[8:9], v[74:75], -v[90:91]
	v_dual_mov_b32 v36, v166 :: v_dual_mov_b32 v37, v167
	v_fma_f64 v[42:43], v[144:145], s[8:9], v[42:43]
	v_fma_f64 v[86:87], v[144:145], s[4:5], v[86:87]
	v_add_f64 v[112:113], v[112:113], v[68:69]
	s_delay_alu instid0(VALU_DEP_4)
	v_add_f64 v[78:79], v[44:45], -v[36:37]
	v_add_f64 v[88:89], v[36:37], -v[44:45]
	v_add_f64 v[156:157], v[156:157], v[64:65]
	scratch_store_b64 off, v[26:27], off offset:72 ; 8-byte Folded Spill
	v_add_f64 v[26:27], v[134:135], v[166:167]
	v_fma_f64 v[114:115], v[160:161], -0.5, v[4:5]
	scratch_load_b128 v[4:7], off, off offset:16 ; 16-byte Folded Reload
	v_add_f64 v[166:167], v[74:75], -v[100:101]
	v_fma_f64 v[12:13], v[26:27], -0.5, v[14:15]
	v_dual_mov_b32 v14, v28 :: v_dual_mov_b32 v15, v29
	scratch_store_b64 off, v[44:45], off offset:80 ; 8-byte Folded Spill
	v_add_f64 v[26:27], v[96:97], -v[134:135]
	v_fma_f64 v[96:97], v[245:246], -0.5, v[10:11]
	v_mov_b32_e32 v10, v16
	scratch_store_b64 off, v[14:15], off offset:96 ; 8-byte Folded Spill
	v_add_f64 v[108:109], v[84:85], -v[14:15]
	v_mov_b32_e32 v11, v17
	v_add_f64 v[44:45], v[26:27], v[78:79]
	v_fma_f64 v[78:79], v[144:145], s[12:13], v[140:141]
	s_delay_alu instid0(VALU_DEP_1)
	v_fma_f64 v[78:79], v[136:137], s[4:5], v[78:79]
	s_waitcnt vmcnt(0)
	v_add_f64 v[158:159], v[4:5], v[102:103]
	v_fma_f64 v[160:161], v[20:21], -0.5, v[4:5]
	v_fma_f64 v[162:163], v[56:57], -0.5, v[4:5]
	;; [unrolled: 1-line block ×4, first 2 shown]
	v_add_f64 v[50:51], v[6:7], v[16:17]
	s_clause 0x1
	scratch_load_b64 v[4:5], off, off offset:32
	scratch_load_b64 v[6:7], off, off offset:40
	s_clause 0x1
	scratch_store_b64 off, v[62:63], off offset:88
	scratch_store_b64 off, v[8:9], off offset:32
	v_add_f64 v[8:9], v[100:101], -v[62:63]
	v_dual_mov_b32 v0, v164 :: v_dual_mov_b32 v1, v165
	v_add_f64 v[20:21], v[90:91], -v[74:75]
	v_add_f64 v[164:165], v[90:91], -v[62:63]
	v_add_f64 v[90:91], v[186:187], v[182:183]
	v_add_f64 v[16:17], v[132:133], v[134:135]
	v_mov_b32_e32 v246, v1
	v_add_f64 v[253:254], v[58:59], -v[0:1]
	v_add_f64 v[186:187], v[14:15], -v[0:1]
	v_mov_b32_e32 v245, v0
	v_add_f64 v[134:135], v[76:77], -v[66:67]
	s_clause 0x1
	scratch_store_b64 off, v[54:55], off offset:104
	scratch_store_b64 off, v[8:9], off offset:40
	scratch_load_b64 v[8:9], off, off offset:64 ; 8-byte Folded Reload
	s_waitcnt vmcnt(1)
	v_add_f64 v[4:5], v[4:5], v[6:7]
	scratch_load_b64 v[6:7], off, off offset:48 ; 8-byte Folded Reload
	v_fma_f64 v[146:147], v[4:5], s[0:1], v[60:61]
	v_fma_f64 v[60:61], v[178:179], s[12:13], v[184:185]
	s_waitcnt vmcnt(1)
	v_add_f64 v[182:183], v[8:9], v[188:189]
	v_add_f64 v[8:9], v[84:85], -v[58:59]
	v_add_f64 v[188:189], v[210:211], v[196:197]
	v_add_f64 v[210:211], v[58:59], -v[84:85]
	;; [unrolled: 2-line block ×3, first 2 shown]
	scratch_load_b64 v[0:1], off, off offset:72 ; 8-byte Folded Reload
	v_add_f64 v[202:203], v[70:71], v[212:213]
	v_add_f64 v[212:213], v[76:77], -v[30:31]
	v_add_f64 v[70:71], v[228:229], v[72:73]
	v_add_f64 v[228:229], v[68:69], -v[82:83]
	v_add_f64 v[72:73], v[92:93], v[74:75]
	v_fma_f64 v[74:75], v[32:33], s[12:13], v[124:125]
	v_fma_f64 v[92:93], v[194:195], s[12:13], v[198:199]
	v_add_f64 v[70:71], v[70:71], v[138:139]
	v_add_f64 v[138:139], v[10:11], -v[172:173]
	s_delay_alu instid0(VALU_DEP_4) | instskip(NEXT) | instid1(VALU_DEP_4)
	v_fma_f64 v[74:75], v[38:39], s[4:5], v[74:75]
	v_fma_f64 v[92:93], v[192:193], s[4:5], v[92:93]
	s_waitcnt vmcnt(1)
	v_add_f64 v[28:29], v[6:7], v[128:129]
	scratch_load_b64 v[6:7], off, off offset:56 ; 8-byte Folded Reload
	v_add_f64 v[128:129], v[62:63], -v[100:101]
	v_add_f64 v[62:63], v[72:73], v[100:101]
	v_fma_f64 v[72:73], v[130:131], s[10:11], v[230:231]
	v_fma_f64 v[100:101], v[236:237], s[12:13], v[120:121]
	;; [unrolled: 1-line block ×3, first 2 shown]
	v_add_f64 v[128:129], v[20:21], v[128:129]
	v_fma_f64 v[20:21], v[194:195], s[10:11], v[198:199]
	v_fma_f64 v[198:199], v[152:153], s[12:13], v[226:227]
	;; [unrolled: 1-line block ×3, first 2 shown]
	s_waitcnt vmcnt(0)
	v_add_f64 v[6:7], v[6:7], v[126:127]
	v_add_f64 v[126:127], v[180:181], v[118:119]
	v_dual_mov_b32 v119, v25 :: v_dual_mov_b32 v118, v24
	v_add_f64 v[180:181], v[66:67], -v[76:77]
	v_fma_f64 v[76:77], v[144:145], s[10:11], v[140:141]
	v_fma_f64 v[24:25], v[4:5], s[0:1], v[40:41]
	v_add_f64 v[140:141], v[64:65], -v[30:31]
	v_add_f64 v[144:145], v[80:81], v[88:89]
	v_fma_f64 v[80:81], v[192:193], s[12:13], v[190:191]
	v_fma_f64 v[88:89], v[192:193], s[10:11], v[190:191]
	;; [unrolled: 1-line block ×3, first 2 shown]
	v_dual_mov_b32 v5, v1 :: v_dual_mov_b32 v4, v0
	v_add_f64 v[154:155], v[54:55], -v[118:119]
	v_add_f64 v[196:197], v[118:119], -v[54:55]
	;; [unrolled: 1-line block ×3, first 2 shown]
	v_fma_f64 v[68:69], v[208:209], s[12:13], v[214:215]
	v_fma_f64 v[198:199], v[4:5], s[4:5], v[198:199]
	v_fma_f64 v[40:41], v[176:177], s[10:11], v[174:175]
	v_fma_f64 v[66:67], v[0:1], s[12:13], v[220:221]
	v_fma_f64 v[220:221], v[176:177], s[4:5], v[60:61]
	v_fma_f64 v[60:61], v[108:109], s[10:11], v[94:95]
	v_dual_mov_b32 v0, v34 :: v_dual_mov_b32 v1, v35
	v_add_f64 v[34:35], v[50:51], v[104:105]
	v_add_f64 v[50:51], v[104:105], -v[10:11]
	v_add_f64 v[98:99], v[98:99], -v[122:123]
	v_add_f64 v[14:15], v[70:71], v[122:123]
	v_fma_f64 v[94:95], v[108:109], s[12:13], v[94:95]
	v_fma_f64 v[26:27], v[6:7], s[0:1], v[42:43]
	scratch_store_b64 off, v[8:9], off offset:48 ; 8-byte Folded Spill
	v_add_f64 v[8:9], v[82:83], -v[54:55]
	v_fma_f64 v[82:83], v[32:33], s[10:11], v[124:125]
	v_add_f64 v[124:125], v[30:31], -v[64:65]
	v_add_f64 v[30:31], v[22:23], v[58:59]
	v_fma_f64 v[58:59], v[152:153], s[10:11], v[226:227]
	v_add_f64 v[54:55], v[16:17], v[36:37]
	v_fma_f64 v[42:43], v[176:177], s[12:13], v[174:175]
	v_fma_f64 v[80:81], v[194:195], s[8:9], v[80:81]
	;; [unrolled: 1-line block ×18, first 2 shown]
	v_add_f64 v[22:23], v[158:159], v[106:107]
	v_add_f64 v[158:159], v[172:173], -v[0:1]
	v_fma_f64 v[136:137], v[98:99], s[12:13], v[12:13]
	v_fma_f64 v[12:13], v[98:99], s[10:11], v[12:13]
	;; [unrolled: 1-line block ×5, first 2 shown]
	v_add_f64 v[192:193], v[102:103], -v[48:49]
	v_add_f64 v[140:141], v[180:181], v[140:141]
	v_fma_f64 v[120:121], v[218:219], s[12:13], v[116:117]
	v_fma_f64 v[116:117], v[218:219], s[10:11], v[116:117]
	v_add_f64 v[154:155], v[224:225], v[154:155]
	scratch_store_b128 off, v[24:27], off offset:16 ; 16-byte Folded Spill
	v_fma_f64 v[82:83], v[38:39], s[8:9], v[82:83]
	v_add_f64 v[134:135], v[134:135], v[124:125]
	v_add_f64 v[30:31], v[30:31], v[245:246]
	v_fma_f64 v[96:97], v[4:5], s[8:9], v[58:59]
	v_fma_f64 v[4:5], v[166:167], s[10:11], v[110:111]
	;; [unrolled: 1-line block ×11, first 2 shown]
	v_add_f64 v[176:177], v[104:105], -v[0:1]
	v_fma_f64 v[184:185], v[206:207], s[8:9], v[184:185]
	v_fma_f64 v[206:207], v[253:254], s[12:13], v[18:19]
	;; [unrolled: 1-line block ×4, first 2 shown]
	v_add_f64 v[126:127], v[10:11], -v[104:105]
	v_add_f64 v[104:105], v[0:1], -v[172:173]
	v_fma_f64 v[20:21], v[166:167], s[4:5], v[20:21]
	v_fma_f64 v[32:33], v[208:209], s[4:5], v[32:33]
	;; [unrolled: 1-line block ×3, first 2 shown]
	v_add_f64 v[208:209], v[106:107], -v[170:171]
	v_fma_f64 v[136:137], v[2:3], s[8:9], v[136:137]
	v_fma_f64 v[24:25], v[2:3], s[4:5], v[12:13]
	;; [unrolled: 1-line block ×11, first 2 shown]
	v_add_f64 v[36:37], v[102:103], -v[106:107]
	v_add_f64 v[40:41], v[48:49], -v[170:171]
	v_fma_f64 v[236:237], v[212:213], s[10:11], v[114:115]
	v_fma_f64 v[114:115], v[212:213], s[12:13], v[114:115]
	v_add_f64 v[102:103], v[106:107], -v[102:103]
	v_fma_f64 v[92:93], v[46:47], s[0:1], v[96:97]
	v_fma_f64 v[96:97], v[46:47], s[0:1], v[198:199]
	v_dual_mov_b32 v199, v1 :: v_dual_mov_b32 v198, v0
	s_clause 0x1
	scratch_load_b64 v[0:1], off, off offset:32
	scratch_load_b64 v[10:11], off, off offset:40
	v_fma_f64 v[178:179], v[98:99], s[8:9], v[178:179]
	v_fma_f64 v[98:99], v[98:99], s[4:5], v[214:215]
	v_fma_f64 v[214:215], v[132:133], s[10:11], v[150:151]
	v_fma_f64 v[4:5], v[164:165], s[8:9], v[4:5]
	v_add_f64 v[164:165], v[112:113], v[118:119]
	v_fma_f64 v[78:79], v[182:183], s[0:1], v[86:87]
	v_fma_f64 v[182:183], v[166:167], s[8:9], v[190:191]
	v_add_f64 v[166:167], v[210:211], v[200:201]
	v_fma_f64 v[94:95], v[216:217], s[0:1], v[184:185]
	v_fma_f64 v[150:151], v[28:29], s[0:1], v[82:83]
	v_fma_f64 v[70:71], v[90:91], s[0:1], v[42:43]
	v_fma_f64 v[42:43], v[138:139], s[12:13], v[160:161]
	v_fma_f64 v[46:47], v[176:177], s[12:13], v[162:163]
	v_fma_f64 v[162:163], v[176:177], s[10:11], v[162:163]
	v_fma_f64 v[82:83], v[202:203], s[0:1], v[32:33]
	v_fma_f64 v[32:33], v[138:139], s[10:11], v[160:161]
	v_fma_f64 v[160:161], v[208:209], s[10:11], v[56:57]
	v_fma_f64 v[26:27], v[208:209], s[12:13], v[56:57]
	v_fma_f64 v[86:87], v[202:203], s[0:1], v[174:175]
	v_fma_f64 v[12:13], v[132:133], s[8:9], v[12:13]
	v_fma_f64 v[132:133], v[132:133], s[4:5], v[142:143]
	v_add_f64 v[56:57], v[34:35], v[198:199]
	v_add_f64 v[106:107], v[170:171], -v[48:49]
	v_fma_f64 v[202:203], v[238:239], s[0:1], v[110:111]
	v_fma_f64 v[110:111], v[192:193], s[12:13], v[168:169]
	;; [unrolled: 1-line block ×6, first 2 shown]
	v_add_f64 v[180:181], v[36:37], v[40:41]
	v_fma_f64 v[36:37], v[44:45], s[0:1], v[24:25]
	v_fma_f64 v[108:109], v[108:109], s[8:9], v[230:231]
	v_fma_f64 v[120:121], v[212:213], s[4:5], v[120:121]
	v_add_f64 v[190:191], v[228:229], v[196:197]
	v_fma_f64 v[188:189], v[218:219], s[8:9], v[114:115]
	v_fma_f64 v[76:77], v[84:85], s[0:1], v[194:195]
	;; [unrolled: 1-line block ×8, first 2 shown]
	v_add_f64 v[200:201], v[50:51], v[104:105]
	v_fma_f64 v[194:195], v[212:213], s[8:9], v[116:117]
	v_add_f64 v[158:159], v[126:127], v[158:159]
	v_fma_f64 v[112:113], v[166:167], s[0:1], v[4:5]
	v_fma_f64 v[116:117], v[166:167], s[0:1], v[6:7]
	scratch_load_b64 v[4:5], off, off offset:104 ; 8-byte Folded Reload
	v_fma_f64 v[46:47], v[138:139], s[4:5], v[46:47]
	v_fma_f64 v[162:163], v[138:139], s[8:9], v[162:163]
	;; [unrolled: 1-line block ×4, first 2 shown]
	v_add_f64 v[56:57], v[56:57], v[172:173]
	v_add_f64 v[196:197], v[102:103], v[106:107]
	v_fma_f64 v[102:103], v[128:129], s[0:1], v[18:19]
	v_fma_f64 v[198:199], v[208:209], s[8:9], v[110:111]
	v_fma_f64 v[106:107], v[128:129], s[0:1], v[130:131]
	v_fma_f64 v[168:169], v[208:209], s[4:5], v[168:169]
	v_fma_f64 v[118:119], v[154:155], s[0:1], v[188:189]
	v_fma_f64 v[124:125], v[140:141], s[0:1], v[142:143]
	v_fma_f64 v[126:127], v[190:191], s[0:1], v[194:195]
	v_fma_f64 v[144:145], v[200:201], s[0:1], v[192:193]
	v_fma_f64 v[138:139], v[196:197], s[0:1], v[46:47]
	v_fma_f64 v[142:143], v[196:197], s[0:1], v[162:163]
	v_fma_f64 v[136:137], v[158:159], s[0:1], v[168:169]
	s_waitcnt vmcnt(1)
	v_add_f64 v[122:123], v[0:1], v[10:11]
	scratch_load_b64 v[0:1], off, off offset:48 ; 8-byte Folded Reload
	v_fma_f64 v[114:115], v[122:123], s[0:1], v[108:109]
	v_fma_f64 v[110:111], v[122:123], s[0:1], v[174:175]
	;; [unrolled: 1-line block ×5, first 2 shown]
	s_waitcnt vmcnt(1)
	v_add_f64 v[26:27], v[164:165], v[4:5]
	scratch_load_b64 v[4:5], off, off offset:112 ; 8-byte Folded Reload
	s_waitcnt vmcnt(1)
	v_add_f64 v[184:185], v[0:1], v[186:187]
	v_fma_f64 v[0:1], v[8:9], s[4:5], v[2:3]
	scratch_load_b64 v[8:9], off, off offset:80 ; 8-byte Folded Reload
	v_add_f64 v[2:3], v[22:23], v[170:171]
	v_fma_f64 v[22:23], v[176:177], s[4:5], v[32:33]
	v_fma_f64 v[176:177], v[176:177], s[8:9], v[42:43]
	;; [unrolled: 1-line block ×11, first 2 shown]
	s_waitcnt vmcnt(1)
	v_add_f64 v[28:29], v[156:157], v[4:5]
	s_waitcnt vmcnt(0)
	v_add_f64 v[16:17], v[54:55], v[8:9]
	scratch_load_b64 v[8:9], off, off offset:88 ; 8-byte Folded Reload
	v_add_f64 v[54:55], v[2:3], v[48:49]
	s_waitcnt vmcnt(0)
	v_add_f64 v[98:99], v[62:63], v[8:9]
	scratch_load_b64 v[8:9], off, off offset:96 ; 8-byte Folded Reload
	s_waitcnt vmcnt(0)
	s_waitcnt_vscnt null, 0x0
	s_barrier
	buffer_gl0_inv
	v_add_f64 v[100:101], v[30:31], v[8:9]
	ds_store_b128 v240, v[232:235]
	ds_store_b128 v240, v[241:244] offset:896
	ds_store_b128 v240, v[58:61] offset:12544
	;; [unrolled: 1-line block ×25, first 2 shown]
	scratch_load_b128 v[0:3], off, off offset:16 ; 16-byte Folded Reload
	v_fma_f64 v[30:31], v[154:155], s[0:1], v[186:187]
	s_waitcnt vmcnt(0)
	ds_store_b128 v240, v[0:3] offset:6272
	ds_store_b128 v240, v[54:57] offset:5376
	;; [unrolled: 1-line block ×9, first 2 shown]
	s_waitcnt lgkmcnt(0)
	s_barrier
	buffer_gl0_inv
	s_and_saveexec_b32 s0, vcc_lo
	s_cbranch_execz .LBB0_29
; %bb.28:
	s_clause 0x1
	scratch_load_b64 v[4:5], off, off
	scratch_load_b64 v[32:33], off, off offset:120
	s_waitcnt vmcnt(0)
	v_mov_b32_e32 v33, 0
	v_mul_lo_u32 v2, s3, v4
	v_add_nc_u32_e32 v12, 56, v32
	v_mul_lo_u32 v3, s2, v5
	v_mad_u64_u32 v[0:1], null, s2, v4, 0
	v_lshl_add_u32 v28, v32, 4, 0
	v_mov_b32_e32 v13, v33
	v_lshlrev_b64 v[14:15], 4, v[32:33]
	v_dual_mov_b32 v23, v33 :: v_dual_add_nc_u32 v22, 0x118, v32
	v_dual_mov_b32 v25, v33 :: v_dual_add_nc_u32 v24, 0x150, v32
	v_add3_u32 v1, v1, v3, v2
	scratch_load_b64 v[2:3], off, off offset:8 ; 8-byte Folded Reload
	v_lshlrev_b64 v[22:23], 4, v[22:23]
	v_lshlrev_b64 v[10:11], 4, v[0:1]
	s_delay_alu instid0(VALU_DEP_1) | instskip(NEXT) | instid1(VALU_DEP_2)
	v_add_co_u32 v10, vcc_lo, s6, v10
	v_add_co_ci_u32_e32 v11, vcc_lo, s7, v11, vcc_lo
	s_waitcnt vmcnt(0)
	v_lshlrev_b64 v[8:9], 4, v[2:3]
	ds_load_b128 v[0:3], v28
	ds_load_b128 v[4:7], v28 offset:896
	v_add_co_u32 v30, vcc_lo, v10, v8
	v_add_co_ci_u32_e32 v31, vcc_lo, v11, v9, vcc_lo
	v_lshlrev_b64 v[8:9], 4, v[12:13]
	s_delay_alu instid0(VALU_DEP_3) | instskip(NEXT) | instid1(VALU_DEP_3)
	v_add_co_u32 v10, vcc_lo, v30, v14
	v_add_co_ci_u32_e32 v11, vcc_lo, v31, v15, vcc_lo
	v_add_nc_u32_e32 v12, 0x70, v32
	s_delay_alu instid0(VALU_DEP_4)
	v_add_co_u32 v8, vcc_lo, v30, v8
	v_add_co_ci_u32_e32 v9, vcc_lo, v31, v9, vcc_lo
	s_waitcnt lgkmcnt(1)
	global_store_b128 v[10:11], v[0:3], off
	s_waitcnt lgkmcnt(0)
	global_store_b128 v[8:9], v[4:7], off
	v_lshlrev_b64 v[0:1], 4, v[12:13]
	v_dual_mov_b32 v9, v33 :: v_dual_add_nc_u32 v8, 0xa8, v32
	v_dual_mov_b32 v11, v33 :: v_dual_add_nc_u32 v10, 0xe0, v32
	s_delay_alu instid0(VALU_DEP_3) | instskip(NEXT) | instid1(VALU_DEP_4)
	v_add_co_u32 v16, vcc_lo, v30, v0
	v_add_co_ci_u32_e32 v17, vcc_lo, v31, v1, vcc_lo
	ds_load_b128 v[0:3], v28 offset:1792
	ds_load_b128 v[4:7], v28 offset:2688
	v_lshlrev_b64 v[18:19], 4, v[8:9]
	v_lshlrev_b64 v[20:21], 4, v[10:11]
	ds_load_b128 v[8:11], v28 offset:3584
	ds_load_b128 v[12:15], v28 offset:4480
	v_add_co_u32 v18, vcc_lo, v30, v18
	v_add_co_ci_u32_e32 v19, vcc_lo, v31, v19, vcc_lo
	v_add_co_u32 v20, vcc_lo, v30, v20
	v_add_co_ci_u32_e32 v21, vcc_lo, v31, v21, vcc_lo
	;; [unrolled: 2-line block ×3, first 2 shown]
	s_waitcnt lgkmcnt(3)
	global_store_b128 v[16:17], v[0:3], off
	s_waitcnt lgkmcnt(2)
	global_store_b128 v[18:19], v[4:7], off
	;; [unrolled: 2-line block ×4, first 2 shown]
	v_lshlrev_b64 v[0:1], 4, v[24:25]
	v_dual_mov_b32 v9, v33 :: v_dual_add_nc_u32 v8, 0x188, v32
	v_dual_mov_b32 v11, v33 :: v_dual_add_nc_u32 v10, 0x1c0, v32
	;; [unrolled: 1-line block ×3, first 2 shown]
	s_delay_alu instid0(VALU_DEP_4)
	v_add_co_u32 v16, vcc_lo, v30, v0
	v_add_co_ci_u32_e32 v17, vcc_lo, v31, v1, vcc_lo
	ds_load_b128 v[0:3], v28 offset:5376
	ds_load_b128 v[4:7], v28 offset:6272
	v_lshlrev_b64 v[18:19], 4, v[8:9]
	v_lshlrev_b64 v[20:21], 4, v[10:11]
	ds_load_b128 v[8:11], v28 offset:7168
	ds_load_b128 v[12:15], v28 offset:8064
	v_lshlrev_b64 v[22:23], 4, v[22:23]
	v_add_nc_u32_e32 v24, 0x230, v32
	v_add_co_u32 v18, vcc_lo, v30, v18
	v_add_co_ci_u32_e32 v19, vcc_lo, v31, v19, vcc_lo
	v_add_co_u32 v20, vcc_lo, v30, v20
	v_add_co_ci_u32_e32 v21, vcc_lo, v31, v21, vcc_lo
	v_add_co_u32 v22, vcc_lo, v30, v22
	v_add_co_ci_u32_e32 v23, vcc_lo, v31, v23, vcc_lo
	s_waitcnt lgkmcnt(3)
	global_store_b128 v[16:17], v[0:3], off
	s_waitcnt lgkmcnt(2)
	global_store_b128 v[18:19], v[4:7], off
	s_waitcnt lgkmcnt(1)
	global_store_b128 v[20:21], v[8:11], off
	s_waitcnt lgkmcnt(0)
	global_store_b128 v[22:23], v[12:15], off
	v_mov_b32_e32 v9, v33
	v_lshlrev_b64 v[0:1], 4, v[24:25]
	v_dual_mov_b32 v11, v33 :: v_dual_add_nc_u32 v8, 0x268, v32
	v_dual_mov_b32 v23, v33 :: v_dual_add_nc_u32 v10, 0x2a0, v32
	v_add_nc_u32_e32 v22, 0x2d8, v32
	s_delay_alu instid0(VALU_DEP_4)
	v_add_co_u32 v16, vcc_lo, v30, v0
	v_add_co_ci_u32_e32 v17, vcc_lo, v31, v1, vcc_lo
	ds_load_b128 v[0:3], v28 offset:8960
	ds_load_b128 v[4:7], v28 offset:9856
	v_lshlrev_b64 v[18:19], 4, v[8:9]
	v_lshlrev_b64 v[20:21], 4, v[10:11]
	ds_load_b128 v[8:11], v28 offset:10752
	ds_load_b128 v[12:15], v28 offset:11648
	v_lshlrev_b64 v[22:23], 4, v[22:23]
	v_add_nc_u32_e32 v24, 0x310, v32
	v_add_co_u32 v18, vcc_lo, v30, v18
	v_add_co_ci_u32_e32 v19, vcc_lo, v31, v19, vcc_lo
	v_add_co_u32 v20, vcc_lo, v30, v20
	v_add_co_ci_u32_e32 v21, vcc_lo, v31, v21, vcc_lo
	v_add_co_u32 v22, vcc_lo, v30, v22
	v_add_co_ci_u32_e32 v23, vcc_lo, v31, v23, vcc_lo
	s_waitcnt lgkmcnt(3)
	global_store_b128 v[16:17], v[0:3], off
	s_waitcnt lgkmcnt(2)
	global_store_b128 v[18:19], v[4:7], off
	s_waitcnt lgkmcnt(1)
	global_store_b128 v[20:21], v[8:11], off
	s_waitcnt lgkmcnt(0)
	global_store_b128 v[22:23], v[12:15], off
	v_mov_b32_e32 v11, v33
	v_lshlrev_b64 v[0:1], 4, v[24:25]
	v_dual_mov_b32 v23, v33 :: v_dual_add_nc_u32 v8, 0x348, v32
	v_dual_mov_b32 v9, v33 :: v_dual_add_nc_u32 v10, 0x380, v32
	v_add_nc_u32_e32 v22, 0x3b8, v32
	;; [unrolled: 30-line block ×3, first 2 shown]
	s_delay_alu instid0(VALU_DEP_4)
	v_add_co_u32 v16, vcc_lo, v30, v0
	v_add_co_ci_u32_e32 v17, vcc_lo, v31, v1, vcc_lo
	ds_load_b128 v[0:3], v28 offset:16128
	ds_load_b128 v[4:7], v28 offset:17024
	v_lshlrev_b64 v[18:19], 4, v[8:9]
	v_lshlrev_b64 v[20:21], 4, v[10:11]
	ds_load_b128 v[8:11], v28 offset:17920
	ds_load_b128 v[12:15], v28 offset:18816
	v_lshlrev_b64 v[22:23], 4, v[22:23]
	v_add_nc_u32_e32 v24, 0x4d0, v32
	v_add_co_u32 v18, vcc_lo, v30, v18
	v_add_co_ci_u32_e32 v19, vcc_lo, v31, v19, vcc_lo
	v_add_co_u32 v20, vcc_lo, v30, v20
	v_add_co_ci_u32_e32 v21, vcc_lo, v31, v21, vcc_lo
	;; [unrolled: 2-line block ×3, first 2 shown]
	s_waitcnt lgkmcnt(3)
	global_store_b128 v[16:17], v[0:3], off
	s_waitcnt lgkmcnt(2)
	global_store_b128 v[18:19], v[4:7], off
	;; [unrolled: 2-line block ×4, first 2 shown]
	v_lshlrev_b64 v[0:1], 4, v[24:25]
	v_dual_mov_b32 v9, v33 :: v_dual_add_nc_u32 v8, 0x508, v32
	v_dual_mov_b32 v11, v33 :: v_dual_add_nc_u32 v10, 0x540, v32
	v_add_nc_u32_e32 v22, 0x578, v32
	s_delay_alu instid0(VALU_DEP_4)
	v_add_co_u32 v16, vcc_lo, v30, v0
	v_add_co_ci_u32_e32 v17, vcc_lo, v31, v1, vcc_lo
	ds_load_b128 v[0:3], v28 offset:19712
	ds_load_b128 v[4:7], v28 offset:20608
	v_lshlrev_b64 v[18:19], 4, v[8:9]
	v_lshlrev_b64 v[20:21], 4, v[10:11]
	ds_load_b128 v[8:11], v28 offset:21504
	ds_load_b128 v[12:15], v28 offset:22400
	v_dual_mov_b32 v23, v33 :: v_dual_add_nc_u32 v24, 0x5b0, v32
	v_add_co_u32 v18, vcc_lo, v30, v18
	s_delay_alu instid0(VALU_DEP_2) | instskip(SKIP_3) | instid1(VALU_DEP_4)
	v_lshlrev_b64 v[22:23], 4, v[22:23]
	v_add_co_ci_u32_e32 v19, vcc_lo, v31, v19, vcc_lo
	v_add_co_u32 v20, vcc_lo, v30, v20
	v_add_co_ci_u32_e32 v21, vcc_lo, v31, v21, vcc_lo
	v_add_co_u32 v22, vcc_lo, v30, v22
	v_add_co_ci_u32_e32 v23, vcc_lo, v31, v23, vcc_lo
	s_waitcnt lgkmcnt(3)
	global_store_b128 v[16:17], v[0:3], off
	s_waitcnt lgkmcnt(2)
	global_store_b128 v[18:19], v[4:7], off
	;; [unrolled: 2-line block ×4, first 2 shown]
	v_lshlrev_b64 v[0:1], 4, v[24:25]
	v_dual_mov_b32 v9, v33 :: v_dual_add_nc_u32 v8, 0x5e8, v32
	v_dual_mov_b32 v11, v33 :: v_dual_add_nc_u32 v10, 0x620, v32
	v_add_nc_u32_e32 v22, 0x658, v32
	s_delay_alu instid0(VALU_DEP_4)
	v_add_co_u32 v16, vcc_lo, v30, v0
	v_add_co_ci_u32_e32 v17, vcc_lo, v31, v1, vcc_lo
	ds_load_b128 v[0:3], v28 offset:23296
	ds_load_b128 v[4:7], v28 offset:24192
	v_lshlrev_b64 v[18:19], 4, v[8:9]
	v_lshlrev_b64 v[20:21], 4, v[10:11]
	ds_load_b128 v[8:11], v28 offset:25088
	ds_load_b128 v[12:15], v28 offset:25984
	v_dual_mov_b32 v23, v33 :: v_dual_add_nc_u32 v24, 0x690, v32
	v_add_co_u32 v18, vcc_lo, v30, v18
	s_delay_alu instid0(VALU_DEP_2) | instskip(SKIP_3) | instid1(VALU_DEP_4)
	v_lshlrev_b64 v[22:23], 4, v[22:23]
	v_add_co_ci_u32_e32 v19, vcc_lo, v31, v19, vcc_lo
	v_add_co_u32 v20, vcc_lo, v30, v20
	v_add_co_ci_u32_e32 v21, vcc_lo, v31, v21, vcc_lo
	v_add_co_u32 v22, vcc_lo, v30, v22
	s_waitcnt lgkmcnt(3)
	global_store_b128 v[16:17], v[0:3], off
	s_waitcnt lgkmcnt(2)
	global_store_b128 v[18:19], v[4:7], off
	v_dual_mov_b32 v3, v33 :: v_dual_add_nc_u32 v2, 0x6c8, v32
	v_add_co_ci_u32_e32 v23, vcc_lo, v31, v23, vcc_lo
	v_lshlrev_b64 v[0:1], 4, v[24:25]
	s_waitcnt lgkmcnt(1)
	global_store_b128 v[20:21], v[8:11], off
	s_waitcnt lgkmcnt(0)
	global_store_b128 v[22:23], v[12:15], off
	v_mov_b32_e32 v11, v33
	v_lshlrev_b64 v[8:9], 4, v[2:3]
	v_add_nc_u32_e32 v10, 0x700, v32
	v_add_co_u32 v20, vcc_lo, v30, v0
	v_add_co_ci_u32_e32 v21, vcc_lo, v31, v1, vcc_lo
	s_delay_alu instid0(VALU_DEP_4)
	v_add_co_u32 v22, vcc_lo, v30, v8
	ds_load_b128 v[0:3], v28 offset:26880
	ds_load_b128 v[4:7], v28 offset:27776
	v_add_co_ci_u32_e32 v23, vcc_lo, v31, v9, vcc_lo
	v_lshlrev_b64 v[26:27], 4, v[10:11]
	ds_load_b128 v[8:11], v28 offset:28672
	ds_load_b128 v[12:15], v28 offset:29568
	;; [unrolled: 1-line block ×3, first 2 shown]
	v_add_nc_u32_e32 v24, 0x738, v32
	v_add_nc_u32_e32 v32, 0x770, v32
	v_add_co_u32 v26, vcc_lo, v30, v26
	s_delay_alu instid0(VALU_DEP_3) | instskip(NEXT) | instid1(VALU_DEP_3)
	v_lshlrev_b64 v[24:25], 4, v[24:25]
	v_lshlrev_b64 v[28:29], 4, v[32:33]
	v_add_co_ci_u32_e32 v27, vcc_lo, v31, v27, vcc_lo
	s_delay_alu instid0(VALU_DEP_3) | instskip(NEXT) | instid1(VALU_DEP_4)
	v_add_co_u32 v24, vcc_lo, v30, v24
	v_add_co_ci_u32_e32 v25, vcc_lo, v31, v25, vcc_lo
	s_delay_alu instid0(VALU_DEP_4)
	v_add_co_u32 v28, vcc_lo, v30, v28
	v_add_co_ci_u32_e32 v29, vcc_lo, v31, v29, vcc_lo
	s_waitcnt lgkmcnt(4)
	global_store_b128 v[20:21], v[0:3], off
	s_waitcnt lgkmcnt(3)
	global_store_b128 v[22:23], v[4:7], off
	;; [unrolled: 2-line block ×5, first 2 shown]
.LBB0_29:
	s_nop 0
	s_sendmsg sendmsg(MSG_DEALLOC_VGPRS)
	s_endpgm
	.section	.rodata,"a",@progbits
	.p2align	6, 0x0
	.amdhsa_kernel fft_rtc_fwd_len1960_factors_4_7_2_7_5_wgs_56_tpt_56_halfLds_dp_op_CI_CI_unitstride_sbrr_C2R_dirReg
		.amdhsa_group_segment_fixed_size 0
		.amdhsa_private_segment_fixed_size 132
		.amdhsa_kernarg_size 104
		.amdhsa_user_sgpr_count 15
		.amdhsa_user_sgpr_dispatch_ptr 0
		.amdhsa_user_sgpr_queue_ptr 0
		.amdhsa_user_sgpr_kernarg_segment_ptr 1
		.amdhsa_user_sgpr_dispatch_id 0
		.amdhsa_user_sgpr_private_segment_size 0
		.amdhsa_wavefront_size32 1
		.amdhsa_uses_dynamic_stack 0
		.amdhsa_enable_private_segment 1
		.amdhsa_system_sgpr_workgroup_id_x 1
		.amdhsa_system_sgpr_workgroup_id_y 0
		.amdhsa_system_sgpr_workgroup_id_z 0
		.amdhsa_system_sgpr_workgroup_info 0
		.amdhsa_system_vgpr_workitem_id 0
		.amdhsa_next_free_vgpr 256
		.amdhsa_next_free_sgpr 28
		.amdhsa_reserve_vcc 1
		.amdhsa_float_round_mode_32 0
		.amdhsa_float_round_mode_16_64 0
		.amdhsa_float_denorm_mode_32 3
		.amdhsa_float_denorm_mode_16_64 3
		.amdhsa_dx10_clamp 1
		.amdhsa_ieee_mode 1
		.amdhsa_fp16_overflow 0
		.amdhsa_workgroup_processor_mode 1
		.amdhsa_memory_ordered 1
		.amdhsa_forward_progress 0
		.amdhsa_shared_vgpr_count 0
		.amdhsa_exception_fp_ieee_invalid_op 0
		.amdhsa_exception_fp_denorm_src 0
		.amdhsa_exception_fp_ieee_div_zero 0
		.amdhsa_exception_fp_ieee_overflow 0
		.amdhsa_exception_fp_ieee_underflow 0
		.amdhsa_exception_fp_ieee_inexact 0
		.amdhsa_exception_int_div_zero 0
	.end_amdhsa_kernel
	.text
.Lfunc_end0:
	.size	fft_rtc_fwd_len1960_factors_4_7_2_7_5_wgs_56_tpt_56_halfLds_dp_op_CI_CI_unitstride_sbrr_C2R_dirReg, .Lfunc_end0-fft_rtc_fwd_len1960_factors_4_7_2_7_5_wgs_56_tpt_56_halfLds_dp_op_CI_CI_unitstride_sbrr_C2R_dirReg
                                        ; -- End function
	.section	.AMDGPU.csdata,"",@progbits
; Kernel info:
; codeLenInByte = 30476
; NumSgprs: 30
; NumVgprs: 256
; ScratchSize: 132
; MemoryBound: 0
; FloatMode: 240
; IeeeMode: 1
; LDSByteSize: 0 bytes/workgroup (compile time only)
; SGPRBlocks: 3
; VGPRBlocks: 31
; NumSGPRsForWavesPerEU: 30
; NumVGPRsForWavesPerEU: 256
; Occupancy: 5
; WaveLimiterHint : 1
; COMPUTE_PGM_RSRC2:SCRATCH_EN: 1
; COMPUTE_PGM_RSRC2:USER_SGPR: 15
; COMPUTE_PGM_RSRC2:TRAP_HANDLER: 0
; COMPUTE_PGM_RSRC2:TGID_X_EN: 1
; COMPUTE_PGM_RSRC2:TGID_Y_EN: 0
; COMPUTE_PGM_RSRC2:TGID_Z_EN: 0
; COMPUTE_PGM_RSRC2:TIDIG_COMP_CNT: 0
	.text
	.p2alignl 7, 3214868480
	.fill 96, 4, 3214868480
	.type	__hip_cuid_5a44a1e0a58f7634,@object ; @__hip_cuid_5a44a1e0a58f7634
	.section	.bss,"aw",@nobits
	.globl	__hip_cuid_5a44a1e0a58f7634
__hip_cuid_5a44a1e0a58f7634:
	.byte	0                               ; 0x0
	.size	__hip_cuid_5a44a1e0a58f7634, 1

	.ident	"AMD clang version 19.0.0git (https://github.com/RadeonOpenCompute/llvm-project roc-6.4.0 25133 c7fe45cf4b819c5991fe208aaa96edf142730f1d)"
	.section	".note.GNU-stack","",@progbits
	.addrsig
	.addrsig_sym __hip_cuid_5a44a1e0a58f7634
	.amdgpu_metadata
---
amdhsa.kernels:
  - .args:
      - .actual_access:  read_only
        .address_space:  global
        .offset:         0
        .size:           8
        .value_kind:     global_buffer
      - .offset:         8
        .size:           8
        .value_kind:     by_value
      - .actual_access:  read_only
        .address_space:  global
        .offset:         16
        .size:           8
        .value_kind:     global_buffer
      - .actual_access:  read_only
        .address_space:  global
        .offset:         24
        .size:           8
        .value_kind:     global_buffer
      - .actual_access:  read_only
        .address_space:  global
        .offset:         32
        .size:           8
        .value_kind:     global_buffer
      - .offset:         40
        .size:           8
        .value_kind:     by_value
      - .actual_access:  read_only
        .address_space:  global
        .offset:         48
        .size:           8
        .value_kind:     global_buffer
      - .actual_access:  read_only
        .address_space:  global
        .offset:         56
        .size:           8
        .value_kind:     global_buffer
      - .offset:         64
        .size:           4
        .value_kind:     by_value
      - .actual_access:  read_only
        .address_space:  global
        .offset:         72
        .size:           8
        .value_kind:     global_buffer
      - .actual_access:  read_only
        .address_space:  global
        .offset:         80
        .size:           8
        .value_kind:     global_buffer
      - .actual_access:  read_only
        .address_space:  global
        .offset:         88
        .size:           8
        .value_kind:     global_buffer
      - .actual_access:  write_only
        .address_space:  global
        .offset:         96
        .size:           8
        .value_kind:     global_buffer
    .group_segment_fixed_size: 0
    .kernarg_segment_align: 8
    .kernarg_segment_size: 104
    .language:       OpenCL C
    .language_version:
      - 2
      - 0
    .max_flat_workgroup_size: 56
    .name:           fft_rtc_fwd_len1960_factors_4_7_2_7_5_wgs_56_tpt_56_halfLds_dp_op_CI_CI_unitstride_sbrr_C2R_dirReg
    .private_segment_fixed_size: 132
    .sgpr_count:     30
    .sgpr_spill_count: 0
    .symbol:         fft_rtc_fwd_len1960_factors_4_7_2_7_5_wgs_56_tpt_56_halfLds_dp_op_CI_CI_unitstride_sbrr_C2R_dirReg.kd
    .uniform_work_group_size: 1
    .uses_dynamic_stack: false
    .vgpr_count:     256
    .vgpr_spill_count: 66
    .wavefront_size: 32
    .workgroup_processor_mode: 1
amdhsa.target:   amdgcn-amd-amdhsa--gfx1100
amdhsa.version:
  - 1
  - 2
...

	.end_amdgpu_metadata
